;; amdgpu-corpus repo=ROCm/rocFFT kind=compiled arch=gfx950 opt=O3
	.text
	.amdgcn_target "amdgcn-amd-amdhsa--gfx950"
	.amdhsa_code_object_version 6
	.protected	fft_rtc_fwd_len1156_factors_17_2_17_2_wgs_204_tpt_68_halfLds_sp_op_CI_CI_unitstride_sbrr_R2C_dirReg ; -- Begin function fft_rtc_fwd_len1156_factors_17_2_17_2_wgs_204_tpt_68_halfLds_sp_op_CI_CI_unitstride_sbrr_R2C_dirReg
	.globl	fft_rtc_fwd_len1156_factors_17_2_17_2_wgs_204_tpt_68_halfLds_sp_op_CI_CI_unitstride_sbrr_R2C_dirReg
	.p2align	8
	.type	fft_rtc_fwd_len1156_factors_17_2_17_2_wgs_204_tpt_68_halfLds_sp_op_CI_CI_unitstride_sbrr_R2C_dirReg,@function
fft_rtc_fwd_len1156_factors_17_2_17_2_wgs_204_tpt_68_halfLds_sp_op_CI_CI_unitstride_sbrr_R2C_dirReg: ; @fft_rtc_fwd_len1156_factors_17_2_17_2_wgs_204_tpt_68_halfLds_sp_op_CI_CI_unitstride_sbrr_R2C_dirReg
; %bb.0:
	s_load_dwordx4 s[4:7], s[0:1], 0x58
	s_load_dwordx4 s[8:11], s[0:1], 0x0
	;; [unrolled: 1-line block ×3, first 2 shown]
	v_mul_u32_u24_e32 v1, 0x3c4, v0
	v_lshrrev_b32_e32 v2, 16, v1
	v_mad_u64_u32 v[4:5], s[2:3], s2, 3, v[2:3]
	v_mov_b32_e32 v6, 0
	v_mov_b32_e32 v5, v6
	s_waitcnt lgkmcnt(0)
	v_cmp_lt_u64_e64 s[2:3], s[10:11], 2
	v_mov_b64_e32 v[2:3], 0
	s_and_b64 vcc, exec, s[2:3]
	v_mov_b64_e32 v[16:17], v[2:3]
	v_mov_b64_e32 v[20:21], v[4:5]
	s_cbranch_vccnz .LBB0_8
; %bb.1:
	s_load_dwordx2 s[2:3], s[0:1], 0x10
	s_add_u32 s16, s14, 8
	s_addc_u32 s17, s15, 0
	s_add_u32 s18, s12, 8
	s_addc_u32 s19, s13, 0
	s_waitcnt lgkmcnt(0)
	s_add_u32 s20, s2, 8
	v_mov_b64_e32 v[2:3], 0
	s_addc_u32 s21, s3, 0
	s_mov_b64 s[22:23], 1
	v_mov_b64_e32 v[16:17], v[2:3]
	v_mov_b64_e32 v[8:9], v[4:5]
.LBB0_2:                                ; =>This Inner Loop Header: Depth=1
	s_load_dwordx2 s[24:25], s[20:21], 0x0
                                        ; implicit-def: $vgpr20_vgpr21
	s_waitcnt lgkmcnt(0)
	v_or_b32_e32 v7, s25, v9
	v_cmp_ne_u64_e32 vcc, 0, v[6:7]
	s_and_saveexec_b64 s[2:3], vcc
	s_xor_b64 s[26:27], exec, s[2:3]
	s_cbranch_execz .LBB0_4
; %bb.3:                                ;   in Loop: Header=BB0_2 Depth=1
	v_cvt_f32_u32_e32 v1, s24
	v_cvt_f32_u32_e32 v5, s25
	s_sub_u32 s2, 0, s24
	s_subb_u32 s3, 0, s25
	v_fmac_f32_e32 v1, 0x4f800000, v5
	v_rcp_f32_e32 v1, v1
	s_nop 0
	v_mul_f32_e32 v1, 0x5f7ffffc, v1
	v_mul_f32_e32 v5, 0x2f800000, v1
	v_trunc_f32_e32 v5, v5
	v_fmac_f32_e32 v1, 0xcf800000, v5
	v_cvt_u32_f32_e32 v5, v5
	v_cvt_u32_f32_e32 v1, v1
	v_mul_lo_u32 v7, s2, v5
	v_mul_hi_u32 v10, s2, v1
	v_mul_lo_u32 v11, s3, v1
	v_add_u32_e32 v7, v10, v7
	v_mul_lo_u32 v14, s2, v1
	v_add_u32_e32 v7, v7, v11
	v_mul_hi_u32 v10, v1, v14
	v_mul_hi_u32 v13, v1, v7
	v_mul_lo_u32 v12, v1, v7
	v_mov_b32_e32 v11, v6
	v_lshl_add_u64 v[10:11], v[10:11], 0, v[12:13]
	v_mul_hi_u32 v13, v5, v14
	v_mul_lo_u32 v14, v5, v14
	v_add_co_u32_e32 v10, vcc, v10, v14
	v_mul_hi_u32 v12, v5, v7
	s_nop 0
	v_addc_co_u32_e32 v10, vcc, v11, v13, vcc
	v_mov_b32_e32 v11, v6
	s_nop 0
	v_addc_co_u32_e32 v13, vcc, 0, v12, vcc
	v_mul_lo_u32 v12, v5, v7
	v_lshl_add_u64 v[10:11], v[10:11], 0, v[12:13]
	v_add_co_u32_e32 v1, vcc, v1, v10
	v_mul_hi_u32 v10, s2, v1
	s_nop 0
	v_addc_co_u32_e32 v5, vcc, v5, v11, vcc
	v_mul_lo_u32 v7, s2, v5
	v_add_u32_e32 v7, v10, v7
	v_mul_lo_u32 v10, s3, v1
	v_add_u32_e32 v7, v7, v10
	v_mul_lo_u32 v12, s2, v1
	v_mul_hi_u32 v15, v5, v12
	v_mul_lo_u32 v18, v5, v12
	v_mul_hi_u32 v11, v1, v7
	;; [unrolled: 2-line block ×3, first 2 shown]
	v_mov_b32_e32 v13, v6
	v_lshl_add_u64 v[10:11], v[12:13], 0, v[10:11]
	v_add_co_u32_e32 v10, vcc, v10, v18
	v_mul_hi_u32 v14, v5, v7
	s_nop 0
	v_addc_co_u32_e32 v10, vcc, v11, v15, vcc
	v_mul_lo_u32 v12, v5, v7
	s_nop 0
	v_addc_co_u32_e32 v13, vcc, 0, v14, vcc
	v_mov_b32_e32 v11, v6
	v_lshl_add_u64 v[10:11], v[10:11], 0, v[12:13]
	v_add_co_u32_e32 v1, vcc, v1, v10
	v_mul_hi_u32 v12, v8, v1
	s_nop 0
	v_addc_co_u32_e32 v5, vcc, v5, v11, vcc
	v_mad_u64_u32 v[10:11], s[2:3], v8, v5, 0
	v_mov_b32_e32 v13, v6
	v_lshl_add_u64 v[10:11], v[12:13], 0, v[10:11]
	v_mad_u64_u32 v[14:15], s[2:3], v9, v1, 0
	v_add_co_u32_e32 v1, vcc, v10, v14
	v_mad_u64_u32 v[12:13], s[2:3], v9, v5, 0
	s_nop 0
	v_addc_co_u32_e32 v10, vcc, v11, v15, vcc
	v_mov_b32_e32 v11, v6
	s_nop 0
	v_addc_co_u32_e32 v13, vcc, 0, v13, vcc
	v_lshl_add_u64 v[10:11], v[10:11], 0, v[12:13]
	v_mul_lo_u32 v1, s25, v10
	v_mul_lo_u32 v5, s24, v11
	v_mad_u64_u32 v[12:13], s[2:3], s24, v10, 0
	v_add3_u32 v1, v13, v5, v1
	v_sub_u32_e32 v5, v9, v1
	v_mov_b32_e32 v7, s25
	v_sub_co_u32_e32 v18, vcc, v8, v12
	v_lshl_add_u64 v[14:15], v[10:11], 0, 1
	s_nop 0
	v_subb_co_u32_e64 v5, s[2:3], v5, v7, vcc
	v_subrev_co_u32_e64 v7, s[2:3], s24, v18
	v_subb_co_u32_e32 v1, vcc, v9, v1, vcc
	s_nop 0
	v_subbrev_co_u32_e64 v5, s[2:3], 0, v5, s[2:3]
	v_cmp_le_u32_e64 s[2:3], s25, v5
	v_cmp_le_u32_e32 vcc, s25, v1
	s_nop 0
	v_cndmask_b32_e64 v12, 0, -1, s[2:3]
	v_cmp_le_u32_e64 s[2:3], s24, v7
	s_nop 1
	v_cndmask_b32_e64 v7, 0, -1, s[2:3]
	v_cmp_eq_u32_e64 s[2:3], s25, v5
	s_nop 1
	v_cndmask_b32_e64 v5, v12, v7, s[2:3]
	v_lshl_add_u64 v[12:13], v[10:11], 0, 2
	v_cmp_ne_u32_e64 s[2:3], 0, v5
	v_cndmask_b32_e64 v7, 0, -1, vcc
	v_cmp_le_u32_e32 vcc, s24, v18
	v_cndmask_b32_e64 v5, v15, v13, s[2:3]
	s_nop 0
	v_cndmask_b32_e64 v13, 0, -1, vcc
	v_cmp_eq_u32_e32 vcc, s25, v1
	s_nop 1
	v_cndmask_b32_e32 v1, v7, v13, vcc
	v_cmp_ne_u32_e32 vcc, 0, v1
	v_cndmask_b32_e64 v1, v14, v12, s[2:3]
	s_nop 0
	v_cndmask_b32_e32 v21, v11, v5, vcc
	v_cndmask_b32_e32 v20, v10, v1, vcc
.LBB0_4:                                ;   in Loop: Header=BB0_2 Depth=1
	s_andn2_saveexec_b64 s[2:3], s[26:27]
	s_cbranch_execz .LBB0_6
; %bb.5:                                ;   in Loop: Header=BB0_2 Depth=1
	v_cvt_f32_u32_e32 v1, s24
	s_sub_i32 s26, 0, s24
	v_mov_b32_e32 v21, v6
	v_rcp_iflag_f32_e32 v1, v1
	s_nop 0
	v_mul_f32_e32 v1, 0x4f7ffffe, v1
	v_cvt_u32_f32_e32 v1, v1
	v_mul_lo_u32 v5, s26, v1
	v_mul_hi_u32 v5, v1, v5
	v_add_u32_e32 v1, v1, v5
	v_mul_hi_u32 v1, v8, v1
	v_mul_lo_u32 v5, v1, s24
	v_sub_u32_e32 v5, v8, v5
	v_add_u32_e32 v7, 1, v1
	v_subrev_u32_e32 v10, s24, v5
	v_cmp_le_u32_e32 vcc, s24, v5
	s_nop 1
	v_cndmask_b32_e32 v5, v5, v10, vcc
	v_cndmask_b32_e32 v1, v1, v7, vcc
	v_add_u32_e32 v7, 1, v1
	v_cmp_le_u32_e32 vcc, s24, v5
	s_nop 1
	v_cndmask_b32_e32 v20, v1, v7, vcc
.LBB0_6:                                ;   in Loop: Header=BB0_2 Depth=1
	s_or_b64 exec, exec, s[2:3]
	v_mad_u64_u32 v[10:11], s[2:3], v20, s24, 0
	s_load_dwordx2 s[2:3], s[18:19], 0x0
	s_add_u32 s22, s22, 1
	v_mul_lo_u32 v1, v21, s24
	v_mul_lo_u32 v5, v20, s25
	s_load_dwordx2 s[24:25], s[16:17], 0x0
	s_addc_u32 s23, s23, 0
	v_add3_u32 v1, v11, v5, v1
	v_sub_co_u32_e32 v5, vcc, v8, v10
	s_add_u32 s16, s16, 8
	s_nop 0
	v_subb_co_u32_e32 v1, vcc, v9, v1, vcc
	s_addc_u32 s17, s17, 0
	s_waitcnt lgkmcnt(0)
	v_mul_lo_u32 v7, s2, v1
	v_mul_lo_u32 v8, s3, v5
	v_mad_u64_u32 v[2:3], s[2:3], s2, v5, v[2:3]
	s_add_u32 s18, s18, 8
	v_add3_u32 v3, v8, v3, v7
	s_addc_u32 s19, s19, 0
	v_mov_b64_e32 v[8:9], s[10:11]
	v_mul_lo_u32 v1, s24, v1
	v_mul_lo_u32 v7, s25, v5
	v_mad_u64_u32 v[16:17], s[2:3], s24, v5, v[16:17]
	s_add_u32 s20, s20, 8
	v_cmp_ge_u64_e32 vcc, s[22:23], v[8:9]
	v_add3_u32 v17, v7, v17, v1
	s_addc_u32 s21, s21, 0
	s_cbranch_vccnz .LBB0_8
; %bb.7:                                ;   in Loop: Header=BB0_2 Depth=1
	v_mov_b64_e32 v[8:9], v[20:21]
	s_branch .LBB0_2
.LBB0_8:
	s_load_dwordx2 s[18:19], s[0:1], 0x28
	s_mov_b32 s0, 0xaaaaaaab
	v_mul_hi_u32 v1, v4, s0
	s_lshl_b64 s[16:17], s[10:11], 3
	v_lshrrev_b32_e32 v1, 1, v1
	s_add_u32 s2, s14, s16
	v_lshl_add_u32 v1, v1, 1, v1
	s_addc_u32 s3, s15, s17
	v_sub_u32_e32 v1, v4, v1
	s_waitcnt lgkmcnt(0)
	v_cmp_gt_u64_e64 s[0:1], s[18:19], v[20:21]
	v_cmp_le_u64_e32 vcc, s[18:19], v[20:21]
                                        ; implicit-def: $vgpr82_vgpr83
                                        ; implicit-def: $vgpr170_vgpr171
                                        ; implicit-def: $vgpr18
                                        ; implicit-def: $agpr10
                                        ; implicit-def: $agpr8
                                        ; implicit-def: $agpr6
                                        ; implicit-def: $agpr0
                                        ; implicit-def: $agpr4
                                        ; implicit-def: $agpr2
	s_and_saveexec_b64 s[10:11], vcc
	s_xor_b64 s[10:11], exec, s[10:11]
	s_cbranch_execz .LBB0_10
; %bb.9:
	s_mov_b32 s14, 0x3c3c3c4
	v_mul_hi_u32 v2, v0, s14
	v_mul_u32_u24_e32 v2, 0x44, v2
	v_sub_u32_e32 v18, v0, v2
	v_add_u32_e32 v0, 0x44, v18
	v_accvgpr_write_b32 a10, v0
	v_add_u32_e32 v0, 0x88, v18
	v_accvgpr_write_b32 a8, v0
	;; [unrolled: 2-line block ×3, first 2 shown]
	v_add_u32_e32 v171, 0x154, v18
	v_add_u32_e32 v83, 0x1dc, v18
	;; [unrolled: 1-line block ×5, first 2 shown]
	v_accvgpr_write_b32 a0, v0
	v_accvgpr_write_b32 a4, v171
	;; [unrolled: 1-line block ×3, first 2 shown]
                                        ; implicit-def: $vgpr0
                                        ; implicit-def: $vgpr2_vgpr3
.LBB0_10:
	s_or_saveexec_b64 s[10:11], s[10:11]
	v_mul_u32_u24_e32 v1, 0x485, v1
	s_xor_b64 exec, exec, s[10:11]
	s_cbranch_execz .LBB0_12
; %bb.11:
	s_add_u32 s12, s12, s16
	s_addc_u32 s13, s13, s17
	s_load_dwordx2 s[12:13], s[12:13], 0x0
	s_mov_b32 s14, 0x3c3c3c4
	s_waitcnt lgkmcnt(0)
	v_mul_lo_u32 v6, s13, v20
	v_mul_lo_u32 v7, s12, v21
	v_mad_u64_u32 v[4:5], s[12:13], s12, v20, 0
	v_add3_u32 v5, v5, v7, v6
	v_mul_hi_u32 v6, v0, s14
	v_mul_u32_u24_e32 v6, 0x44, v6
	v_sub_u32_e32 v18, v0, v6
	v_lshl_add_u64 v[4:5], v[4:5], 3, s[4:5]
	v_lshl_add_u64 v[2:3], v[2:3], 3, v[4:5]
	v_lshlrev_b32_e32 v4, 3, v18
	v_mov_b32_e32 v5, 0
	v_lshl_add_u32 v0, v1, 3, 0
	v_add_u32_e32 v170, 0x110, v18
	v_lshl_add_u64 v[6:7], v[2:3], 0, v[4:5]
	v_add_u32_e32 v19, v0, v4
	v_add_u32_e32 v171, 0x154, v18
	v_mov_b32_e32 v4, v170
	v_lshl_add_u64 v[22:23], v[4:5], 3, v[2:3]
	v_mov_b32_e32 v4, v171
	v_add_u32_e32 v82, 0x198, v18
	v_lshl_add_u64 v[28:29], v[4:5], 3, v[2:3]
	v_add_u32_e32 v83, 0x1dc, v18
	v_mov_b32_e32 v4, v82
	v_lshl_add_u64 v[30:31], v[4:5], 3, v[2:3]
	v_mov_b32_e32 v4, v83
	v_lshl_add_u64 v[2:3], v[4:5], 3, v[2:3]
	s_movk_i32 s4, 0x1000
	global_load_dwordx2 v[8:9], v[6:7], off
	global_load_dwordx2 v[10:11], v[6:7], off offset:544
	global_load_dwordx2 v[12:13], v[6:7], off offset:1088
	global_load_dwordx2 v[14:15], v[6:7], off offset:1632
	global_load_dwordx2 v[4:5], v[22:23], off
	global_load_dwordx2 v[38:39], v[28:29], off
	;; [unrolled: 1-line block ×4, first 2 shown]
	v_add_co_u32_e32 v2, vcc, s4, v6
	v_accvgpr_write_b32 a2, v83
	s_nop 0
	v_addc_co_u32_e32 v3, vcc, 0, v7, vcc
	v_add_co_u32_e32 v6, vcc, 0x2000, v6
	v_accvgpr_write_b32 a4, v171
	s_nop 0
	v_addc_co_u32_e32 v7, vcc, 0, v7, vcc
	global_load_dwordx2 v[28:29], v[6:7], off offset:512
	global_load_dwordx2 v[30:31], v[2:3], off offset:256
	;; [unrolled: 1-line block ×9, first 2 shown]
	v_add_u32_e32 v2, 0x44, v18
	v_accvgpr_write_b32 a10, v2
	v_add_u32_e32 v2, 0x88, v18
	v_accvgpr_write_b32 a8, v2
	;; [unrolled: 2-line block ×4, first 2 shown]
	v_lshl_add_u32 v2, v170, 3, v0
	v_lshl_add_u32 v3, v171, 3, v0
	;; [unrolled: 1-line block ×4, first 2 shown]
	v_add_u32_e32 v7, 0x1000, v19
	v_add_u32_e32 v22, 0x1800, v19
	s_waitcnt vmcnt(15)
	ds_write2_b64 v19, v[8:9], v[10:11] offset1:68
	s_waitcnt vmcnt(13)
	ds_write2_b64 v19, v[12:13], v[14:15] offset0:136 offset1:204
	s_waitcnt vmcnt(12)
	ds_write_b64 v2, v[4:5]
	s_waitcnt vmcnt(11)
	ds_write_b64 v3, v[38:39]
	s_waitcnt vmcnt(8)
	ds_write_b64 v19, v[28:29] offset:8704
	ds_write_b64 v6, v[40:41]
	ds_write_b64 v0, v[42:43]
	s_waitcnt vmcnt(6)
	ds_write2_b64 v7, v[30:31], v[44:45] offset0:32 offset1:100
	s_waitcnt vmcnt(4)
	ds_write2_b64 v7, v[46:47], v[48:49] offset0:168 offset1:236
	;; [unrolled: 2-line block ×4, first 2 shown]
.LBB0_12:
	s_or_b64 exec, exec, s[10:11]
	v_lshlrev_b32_e32 v138, 3, v1
	v_add_u32_e32 v27, 0, v138
	v_lshlrev_b32_e32 v0, 3, v18
	v_add_u32_e32 v2, v27, v0
	v_add3_u32 v19, 0, v0, v138
	s_load_dwordx2 s[4:5], s[2:3], 0x0
	s_waitcnt lgkmcnt(0)
	s_barrier
	v_accvgpr_write_b32 a5, v0
	ds_read_b64 v[0:1], v2
	v_accvgpr_write_b32 a7, v2
	v_add_u32_e32 v2, 0x400, v19
	v_add_u32_e32 v6, 0x800, v19
	;; [unrolled: 1-line block ×5, first 2 shown]
	ds_read2_b64 v[2:5], v2 offset0:76 offset1:144
	ds_read2_b64 v[6:9], v6 offset0:84 offset1:152
	;; [unrolled: 1-line block ×6, first 2 shown]
	v_accvgpr_write_b32 a1, v14
	v_add_u32_e32 v22, 0x1800, v19
	v_add_u32_e32 v26, 0x1c00, v19
	s_waitcnt lgkmcnt(2)
	v_pk_add_f32 v[72:73], v[40:41], v[10:11]
	s_waitcnt lgkmcnt(0)
	v_pk_add_f32 v[14:15], v[0:1], v[46:47]
	v_pk_add_f32 v[76:77], v[10:11], v[40:41] neg_lo:[0,1] neg_hi:[0,1]
	v_pk_add_f32 v[14:15], v[14:15], v[48:49]
	v_pk_add_f32 v[68:69], v[38:39], v[12:13]
	v_pk_add_f32 v[14:15], v[14:15], v[2:3]
	v_pk_add_f32 v[84:85], v[12:13], v[38:39] neg_lo:[0,1] neg_hi:[0,1]
	v_pk_add_f32 v[14:15], v[14:15], v[4:5]
	v_pk_add_f32 v[90:91], v[44:45], v[6:7]
	;; [unrolled: 4-line block ×3, first 2 shown]
	v_pk_add_f32 v[10:11], v[14:15], v[10:11]
	v_pk_add_f32 v[100:101], v[8:9], v[42:43] neg_lo:[0,1] neg_hi:[0,1]
	v_pk_add_f32 v[10:11], v[10:11], v[12:13]
	s_mov_b32 s14, 0xbeb8f4ab
	v_pk_add_f32 v[10:11], v[10:11], v[38:39]
	s_mov_b32 s15, 0x3f6eb680
	v_pk_add_f32 v[14:15], v[10:11], v[40:41]
	ds_read2_b64 v[10:13], v22 offset0:116 offset1:184
	v_pk_add_f32 v[6:7], v[14:15], v[42:43]
	s_mov_b32 s10, s15
	v_pk_add_f32 v[8:9], v[6:7], v[44:45]
	s_mov_b32 s11, s14
	s_waitcnt lgkmcnt(0)
	v_pk_add_f32 v[106:107], v[10:11], v[4:5]
	v_pk_add_f32 v[108:109], v[4:5], v[10:11] neg_lo:[0,1] neg_hi:[0,1]
	ds_read2_b64 v[4:7], v26 offset0:124 offset1:192
	v_pk_add_f32 v[92:93], v[12:13], v[2:3]
	v_pk_add_f32 v[94:95], v[2:3], v[12:13] neg_lo:[0,1] neg_hi:[0,1]
	v_pk_add_f32 v[2:3], v[8:9], v[10:11]
	s_mov_b32 s2, 0xbf2c7751
	v_pk_add_f32 v[2:3], v[2:3], v[12:13]
	s_waitcnt lgkmcnt(0)
	v_pk_add_f32 v[110:111], v[6:7], v[46:47]
	v_pk_add_f32 v[8:9], v[46:47], v[6:7] neg_lo:[0,1] neg_hi:[0,1]
	v_pk_add_f32 v[2:3], v[2:3], v[4:5]
	v_pk_add_f32 v[102:103], v[48:49], v[4:5] neg_lo:[0,1] neg_hi:[0,1]
	v_pk_add_f32 v[28:29], v[2:3], v[6:7]
	v_mov_b32_e32 v3, v111
	v_mov_b32_e32 v111, v8
	;; [unrolled: 1-line block ×3, first 2 shown]
	v_pk_mul_f32 v[86:87], v[110:111], s[10:11]
	v_pk_add_f32 v[104:105], v[4:5], v[48:49]
	s_mov_b32 s26, 0x3f3d2fb0
	v_pk_mul_f32 v[4:5], v[102:103], s[2:3] op_sel:[1,0] op_sel_hi:[0,0]
	v_pk_fma_f32 v[10:11], v[2:3], s[14:15], v[86:87] neg_lo:[1,0,0] neg_hi:[1,0,0]
	v_pk_fma_f32 v[8:9], v[2:3], s[14:15], v[86:87]
	v_pk_fma_f32 v[12:13], v[104:105], s[26:27], v[4:5] op_sel_hi:[1,0,1] neg_lo:[0,0,1] neg_hi:[0,0,1]
	v_pk_fma_f32 v[4:5], v[104:105], s[26:27], v[4:5] op_sel_hi:[1,0,1]
	v_mov_b32_e32 v11, v9
	v_pk_add_f32 v[14:15], v[0:1], v[10:11]
	v_mov_b32_e32 v11, v13
	v_mov_b32_e32 v13, v5
	s_mov_b32 s12, 0xbf65296c
	v_pk_add_f32 v[14:15], v[12:13], v[14:15]
	s_mov_b32 s30, 0x3ee437d1
	v_pk_mul_f32 v[12:13], v[94:95], s[12:13] op_sel_hi:[1,0]
	s_mov_b32 s10, 0xbf7ee86f
	v_pk_fma_f32 v[38:39], v[92:93], s[30:31], v[12:13] op_sel:[0,0,1] op_sel_hi:[1,0,0] neg_lo:[0,0,1] neg_hi:[0,0,1]
	v_pk_fma_f32 v[12:13], v[92:93], s[30:31], v[12:13] op_sel:[0,0,1] op_sel_hi:[1,0,0]
	v_mov_b32_e32 v5, v39
	v_mov_b32_e32 v39, v13
	v_pk_add_f32 v[40:41], v[38:39], v[14:15]
	s_mov_b32 s28, 0x3dbcf732
	v_pk_mul_f32 v[14:15], v[108:109], s[10:11] op_sel_hi:[1,0]
	s_mov_b32 s20, 0xbf763a35
	v_pk_fma_f32 v[42:43], v[106:107], s[28:29], v[14:15] op_sel:[0,0,1] op_sel_hi:[1,0,0] neg_lo:[0,0,1] neg_hi:[0,0,1]
	v_pk_fma_f32 v[38:39], v[106:107], s[28:29], v[14:15] op_sel:[0,0,1] op_sel_hi:[1,0,0]
	v_mov_b32_e32 v15, v43
	v_mov_b32_e32 v43, v39
	;; [unrolled: 8-line block ×5, first 2 shown]
	v_pk_add_f32 v[48:49], v[48:49], v[46:47]
	s_mov_b32 s42, 0xbf7ba420
	v_pk_mul_f32 v[46:47], v[84:85], s[18:19] op_sel_hi:[1,0]
	s_movk_i32 s3, 0x88
	v_pk_fma_f32 v[50:51], v[68:69], s[42:43], v[46:47] op_sel:[0,0,1] op_sel_hi:[1,0,0] neg_lo:[0,0,1] neg_hi:[0,0,1]
	v_pk_fma_f32 v[6:7], v[68:69], s[42:43], v[46:47] op_sel:[0,0,1] op_sel_hi:[1,0,0]
	v_mov_b32_e32 v45, v51
	v_mov_b32_e32 v51, v7
	s_mov_b32 s27, s2
	v_pk_add_f32 v[48:49], v[50:51], v[48:49]
	v_mad_u32_u24 v13, v18, s3, v27
	s_mov_b32 s3, s26
	v_pk_mul_f32 v[50:51], v[110:111], s[26:27]
	v_mov_b32_e32 v53, v105
	v_mov_b32_e32 v105, v102
	s_mov_b32 s29, s10
	s_barrier
	ds_write2_b64 v13, v[28:29], v[48:49] offset1:1
	v_pk_fma_f32 v[28:29], v[2:3], s[2:3], v[50:51] neg_lo:[1,0,0] neg_hi:[1,0,0]
	v_pk_fma_f32 v[48:49], v[2:3], s[2:3], v[50:51]
	v_mov_b32_e32 v52, v103
	s_mov_b32 s11, s28
	v_pk_mul_f32 v[56:57], v[104:105], s[28:29]
	v_mov_b32_e32 v29, v49
	v_pk_fma_f32 v[58:59], v[102:103], s[10:11], v[56:57] op_sel:[1,0,0] op_sel_hi:[0,1,1] neg_lo:[1,0,0] neg_hi:[1,0,0]
	v_pk_fma_f32 v[54:55], v[52:53], s[10:11], v[56:57]
	v_pk_mul_f32 v[60:61], v[94:95], s[16:17] op_sel_hi:[1,0]
	v_mov_b32_e32 v59, v55
	v_pk_add_f32 v[28:29], v[0:1], v[28:29]
	v_pk_fma_f32 v[62:63], v[92:93], s[40:41], v[60:61] op_sel:[0,0,1] op_sel_hi:[1,0,0] neg_lo:[0,0,1] neg_hi:[0,0,1]
	v_pk_fma_f32 v[60:61], v[92:93], s[40:41], v[60:61] op_sel:[0,0,1] op_sel_hi:[1,0,0]
	v_pk_add_f32 v[28:29], v[58:59], v[28:29]
	v_accvgpr_write_b32 a9, v63
	v_mov_b32_e32 v63, v61
	v_pk_add_f32 v[28:29], v[62:63], v[28:29]
	v_pk_mul_f32 v[62:63], v[108:109], s[18:19] op_sel_hi:[1,0]
	s_mov_b32 s24, 0x3f06c442
	v_pk_fma_f32 v[64:65], v[106:107], s[42:43], v[62:63] op_sel:[0,0,1] op_sel_hi:[1,0,0] neg_lo:[0,0,1] neg_hi:[0,0,1]
	v_pk_fma_f32 v[62:63], v[106:107], s[42:43], v[62:63] op_sel:[0,0,1] op_sel_hi:[1,0,0]
	v_mov_b32_e32 v49, v65
	v_mov_b32_e32 v65, v63
	v_pk_add_f32 v[28:29], v[64:65], v[28:29]
	v_pk_mul_f32 v[64:65], v[98:99], s[24:25] op_sel_hi:[1,0]
	s_mov_b32 s38, 0x3f763a35
	v_pk_fma_f32 v[66:67], v[90:91], s[34:35], v[64:65] op_sel:[0,0,1] op_sel_hi:[1,0,0] neg_lo:[0,0,1] neg_hi:[0,0,1]
	v_pk_fma_f32 v[64:65], v[90:91], s[34:35], v[64:65] op_sel:[0,0,1] op_sel_hi:[1,0,0]
	v_mov_b32_e32 v55, v67
	;; [unrolled: 7-line block ×3, first 2 shown]
	v_mov_b32_e32 v71, v67
	v_pk_add_f32 v[28:29], v[70:71], v[28:29]
	v_pk_mul_f32 v[70:71], v[76:77], s[44:45] op_sel_hi:[1,0]
	s_mov_b32 s46, 0x3eb8f4ab
	v_pk_fma_f32 v[80:81], v[72:73], s[30:31], v[70:71] op_sel:[0,0,1] op_sel_hi:[1,0,0] neg_lo:[0,0,1] neg_hi:[0,0,1]
	v_pk_fma_f32 v[70:71], v[72:73], s[30:31], v[70:71] op_sel:[0,0,1] op_sel_hi:[1,0,0]
	v_accvgpr_write_b32 a11, v81
	v_mov_b32_e32 v81, v71
	v_pk_add_f32 v[28:29], v[80:81], v[28:29]
	s_mov_b32 s48, s15
	v_pk_mul_f32 v[80:81], v[84:85], s[46:47] op_sel_hi:[1,0]
	s_mov_b32 s31, s12
	v_pk_fma_f32 v[112:113], v[68:69], s[48:49], v[80:81] op_sel:[0,0,1] op_sel_hi:[1,0,0] neg_lo:[0,0,1] neg_hi:[0,0,1]
	v_pk_fma_f32 v[80:81], v[68:69], s[48:49], v[80:81] op_sel:[0,0,1] op_sel_hi:[1,0,0]
	v_accvgpr_write_b32 a13, v113
	v_mov_b32_e32 v113, v81
	s_mov_b32 s13, s30
	v_pk_mul_f32 v[114:115], v[110:111], s[30:31]
	s_mov_b32 s41, s16
	v_mov_b32_e32 v10, v6
	v_pk_add_f32 v[28:29], v[112:113], v[28:29]
	v_pk_fma_f32 v[120:121], v[2:3], s[12:13], v[114:115] neg_lo:[1,0,0] neg_hi:[1,0,0]
	v_pk_fma_f32 v[112:113], v[2:3], s[12:13], v[114:115]
	s_mov_b32 s17, s40
	v_pk_mul_f32 v[6:7], v[104:105], s[40:41]
	v_mov_b32_e32 v121, v113
	v_pk_fma_f32 v[122:123], v[102:103], s[16:17], v[6:7] op_sel:[1,0,0] op_sel_hi:[0,1,1] neg_lo:[1,0,0] neg_hi:[1,0,0]
	v_pk_fma_f32 v[116:117], v[52:53], s[16:17], v[6:7]
	v_pk_add_f32 v[120:121], v[0:1], v[120:121]
	v_mov_b32_e32 v123, v117
	s_mov_b32 s50, 0x3e3c28d5
	v_pk_add_f32 v[124:125], v[122:123], v[120:121]
	v_pk_mul_f32 v[122:123], v[94:95], s[50:51] op_sel_hi:[1,0]
	s_mov_b32 s50, 0x3f2c7751
	v_pk_fma_f32 v[120:121], v[92:93], s[42:43], v[122:123] op_sel:[0,0,1] op_sel_hi:[1,0,0] neg_lo:[0,0,1] neg_hi:[0,0,1]
	v_pk_fma_f32 v[122:123], v[92:93], s[42:43], v[122:123] op_sel:[0,0,1] op_sel_hi:[1,0,0]
	v_mov_b32_e32 v126, v120
	v_mov_b32_e32 v127, v123
	v_pk_add_f32 v[126:127], v[126:127], v[124:125]
	v_pk_mul_f32 v[124:125], v[108:109], s[38:39] op_sel_hi:[1,0]
	s_mov_b32 s43, s18
	v_pk_fma_f32 v[88:89], v[106:107], s[36:37], v[124:125] op_sel:[0,0,1] op_sel_hi:[1,0,0] neg_lo:[0,0,1] neg_hi:[0,0,1]
	v_pk_fma_f32 v[124:125], v[106:107], s[36:37], v[124:125] op_sel:[0,0,1] op_sel_hi:[1,0,0]
	v_mov_b32_e32 v128, v88
	v_mov_b32_e32 v129, v125
	;; [unrolled: 7-line block ×3, first 2 shown]
	v_pk_add_f32 v[130:131], v[130:131], v[128:129]
	v_pk_mul_f32 v[128:129], v[100:101], s[14:15] op_sel_hi:[1,0]
	v_pk_mul_f32 v[150:151], v[104:105], s[42:43]
	v_pk_fma_f32 v[58:59], v[96:97], s[48:49], v[128:129] op_sel:[0,0,1] op_sel_hi:[1,0,0] neg_lo:[0,0,1] neg_hi:[0,0,1]
	v_pk_fma_f32 v[128:129], v[96:97], s[48:49], v[128:129] op_sel:[0,0,1] op_sel_hi:[1,0,0]
	v_mov_b32_e32 v134, v58
	v_mov_b32_e32 v135, v129
	v_pk_add_f32 v[134:135], v[134:135], v[130:131]
	v_pk_mul_f32 v[130:131], v[76:77], s[10:11] op_sel_hi:[1,0]
	v_pk_fma_f32 v[152:153], v[102:103], s[18:19], v[150:151] op_sel:[1,0,0] op_sel_hi:[0,1,1] neg_lo:[1,0,0] neg_hi:[1,0,0]
	v_pk_fma_f32 v[46:47], v[72:73], s[28:29], v[130:131] op_sel:[0,0,1] op_sel_hi:[1,0,0] neg_lo:[0,0,1] neg_hi:[0,0,1]
	v_pk_fma_f32 v[130:131], v[72:73], s[28:29], v[130:131] op_sel:[0,0,1] op_sel_hi:[1,0,0]
	v_mov_b32_e32 v142, v46
	v_mov_b32_e32 v143, v131
	v_pk_add_f32 v[144:145], v[142:143], v[134:135]
	v_pk_mul_f32 v[134:135], v[84:85], s[22:23] op_sel_hi:[1,0]
	v_pk_fma_f32 v[148:149], v[52:53], s[18:19], v[150:151]
	v_pk_fma_f32 v[142:143], v[68:69], s[34:35], v[134:135] op_sel:[0,0,1] op_sel_hi:[1,0,0] neg_lo:[0,0,1] neg_hi:[0,0,1]
	v_pk_fma_f32 v[134:135], v[68:69], s[34:35], v[134:135] op_sel:[0,0,1] op_sel_hi:[1,0,0]
	v_mov_b32_e32 v146, v142
	v_mov_b32_e32 v147, v135
	v_pk_add_f32 v[144:145], v[146:147], v[144:145]
	v_pk_mul_f32 v[146:147], v[110:111], s[28:29]
	ds_write2_b64 v13, v[28:29], v[144:145] offset0:2 offset1:3
	v_pk_fma_f32 v[28:29], v[2:3], s[10:11], v[146:147] neg_lo:[1,0,0] neg_hi:[1,0,0]
	v_pk_fma_f32 v[144:145], v[2:3], s[10:11], v[146:147]
	v_mov_b32_e32 v153, v149
	v_mov_b32_e32 v29, v145
	v_pk_add_f32 v[28:29], v[0:1], v[28:29]
	v_pk_mul_f32 v[154:155], v[94:95], s[38:39] op_sel_hi:[1,0]
	v_pk_add_f32 v[28:29], v[152:153], v[28:29]
	v_pk_fma_f32 v[152:153], v[92:93], s[36:37], v[154:155] op_sel:[0,0,1] op_sel_hi:[1,0,0] neg_lo:[0,0,1] neg_hi:[0,0,1]
	v_pk_fma_f32 v[154:155], v[92:93], s[36:37], v[154:155] op_sel:[0,0,1] op_sel_hi:[1,0,0]
	v_mov_b32_e32 v156, v152
	v_mov_b32_e32 v157, v155
	v_pk_add_f32 v[28:29], v[156:157], v[28:29]
	v_pk_mul_f32 v[156:157], v[108:109], s[46:47] op_sel_hi:[1,0]
	s_mov_b32 s52, 0x3f4c4adb
	v_pk_fma_f32 v[164:165], v[106:107], s[48:49], v[156:157] op_sel:[0,0,1] op_sel_hi:[1,0,0] neg_lo:[0,0,1] neg_hi:[0,0,1]
	v_pk_fma_f32 v[156:157], v[106:107], s[48:49], v[156:157] op_sel:[0,0,1] op_sel_hi:[1,0,0]
	v_mov_b32_e32 v158, v164
	v_mov_b32_e32 v159, v157
	v_pk_add_f32 v[28:29], v[158:159], v[28:29]
	v_pk_mul_f32 v[158:159], v[98:99], s[12:13] op_sel_hi:[1,0]
	s_mov_b32 s37, s20
	;; [unrolled: 7-line block ×3, first 2 shown]
	v_pk_fma_f32 v[34:35], v[96:97], s[34:35], v[160:161] op_sel:[0,0,1] op_sel_hi:[1,0,0] neg_lo:[0,0,1] neg_hi:[0,0,1]
	v_pk_fma_f32 v[160:161], v[96:97], s[34:35], v[160:161] op_sel:[0,0,1] op_sel_hi:[1,0,0]
	v_mov_b32_e32 v162, v34
	v_mov_b32_e32 v163, v161
	v_pk_add_f32 v[28:29], v[162:163], v[28:29]
	v_pk_mul_f32 v[162:163], v[76:77], s[52:53] op_sel_hi:[1,0]
	v_pk_mul_f32 v[178:179], v[110:111], s[36:37]
	v_pk_fma_f32 v[172:173], v[72:73], s[40:41], v[162:163] op_sel:[0,0,1] op_sel_hi:[1,0,0] neg_lo:[0,0,1] neg_hi:[0,0,1]
	v_pk_fma_f32 v[162:163], v[72:73], s[40:41], v[162:163] op_sel:[0,0,1] op_sel_hi:[1,0,0]
	v_mov_b32_e32 v166, v172
	v_mov_b32_e32 v167, v163
	v_pk_add_f32 v[28:29], v[166:167], v[28:29]
	v_pk_mul_f32 v[166:167], v[84:85], s[50:51] op_sel_hi:[1,0]
	s_mov_b32 s35, s24
	v_pk_fma_f32 v[174:175], v[68:69], s[26:27], v[166:167] op_sel:[0,0,1] op_sel_hi:[1,0,0] neg_lo:[0,0,1] neg_hi:[0,0,1]
	v_pk_fma_f32 v[166:167], v[68:69], s[26:27], v[166:167] op_sel:[0,0,1] op_sel_hi:[1,0,0]
	v_mov_b32_e32 v176, v174
	v_mov_b32_e32 v177, v167
	v_pk_add_f32 v[28:29], v[176:177], v[28:29]
	v_pk_fma_f32 v[184:185], v[2:3], s[20:21], v[178:179] neg_lo:[1,0,0] neg_hi:[1,0,0]
	v_pk_fma_f32 v[176:177], v[2:3], s[20:21], v[178:179]
	s_mov_b32 s25, s34
	v_pk_mul_f32 v[182:183], v[104:105], s[34:35]
	v_mov_b32_e32 v185, v177
	v_pk_fma_f32 v[186:187], v[102:103], s[24:25], v[182:183] op_sel:[1,0,0] op_sel_hi:[0,1,1] neg_lo:[1,0,0] neg_hi:[1,0,0]
	v_pk_fma_f32 v[180:181], v[52:53], s[24:25], v[182:183]
	v_pk_add_f32 v[184:185], v[0:1], v[184:185]
	v_mov_b32_e32 v187, v181
	v_pk_add_f32 v[188:189], v[186:187], v[184:185]
	v_pk_mul_f32 v[186:187], v[94:95], s[50:51] op_sel_hi:[1,0]
	s_mov_b32 s54, 0x3f7ee86f
	v_pk_fma_f32 v[184:185], v[92:93], s[26:27], v[186:187] op_sel:[0,0,1] op_sel_hi:[1,0,0] neg_lo:[0,0,1] neg_hi:[0,0,1]
	v_pk_fma_f32 v[186:187], v[92:93], s[26:27], v[186:187] op_sel:[0,0,1] op_sel_hi:[1,0,0]
	v_mov_b32_e32 v190, v184
	v_mov_b32_e32 v191, v187
	v_pk_add_f32 v[190:191], v[190:191], v[188:189]
	v_pk_mul_f32 v[188:189], v[108:109], s[12:13] op_sel_hi:[1,0]
	s_mov_b32 s37, s38
	v_pk_fma_f32 v[196:197], v[106:107], s[30:31], v[188:189] op_sel:[0,0,1] op_sel_hi:[1,0,0] neg_lo:[0,0,1] neg_hi:[0,0,1]
	v_pk_fma_f32 v[188:189], v[106:107], s[30:31], v[188:189] op_sel:[0,0,1] op_sel_hi:[1,0,0]
	v_mov_b32_e32 v192, v196
	;; [unrolled: 7-line block ×3, first 2 shown]
	v_mov_b32_e32 v195, v191
	v_pk_add_f32 v[194:195], v[194:195], v[192:193]
	v_pk_mul_f32 v[192:193], v[100:101], s[54:55] op_sel_hi:[1,0]
	v_pk_mul_f32 v[214:215], v[104:105], s[36:37]
	v_pk_fma_f32 v[202:203], v[96:97], s[28:29], v[192:193] op_sel:[0,0,1] op_sel_hi:[1,0,0] neg_lo:[0,0,1] neg_hi:[0,0,1]
	v_pk_fma_f32 v[192:193], v[96:97], s[28:29], v[192:193] op_sel:[0,0,1] op_sel_hi:[1,0,0]
	v_mov_b32_e32 v198, v202
	v_mov_b32_e32 v199, v193
	v_pk_add_f32 v[198:199], v[198:199], v[194:195]
	v_pk_mul_f32 v[194:195], v[76:77], s[14:15] op_sel_hi:[1,0]
	v_pk_fma_f32 v[216:217], v[102:103], s[38:39], v[214:215] op_sel:[1,0,0] op_sel_hi:[0,1,1] neg_lo:[1,0,0] neg_hi:[1,0,0]
	v_pk_fma_f32 v[204:205], v[72:73], s[48:49], v[194:195] op_sel:[0,0,1] op_sel_hi:[1,0,0] neg_lo:[0,0,1] neg_hi:[0,0,1]
	v_pk_fma_f32 v[194:195], v[72:73], s[48:49], v[194:195] op_sel:[0,0,1] op_sel_hi:[1,0,0]
	v_mov_b32_e32 v206, v204
	v_mov_b32_e32 v207, v195
	v_pk_add_f32 v[208:209], v[206:207], v[198:199]
	v_pk_mul_f32 v[198:199], v[84:85], s[16:17] op_sel_hi:[1,0]
	v_pk_fma_f32 v[212:213], v[52:53], s[38:39], v[214:215]
	v_pk_fma_f32 v[206:207], v[68:69], s[40:41], v[198:199] op_sel:[0,0,1] op_sel_hi:[1,0,0] neg_lo:[0,0,1] neg_hi:[0,0,1]
	v_pk_fma_f32 v[198:199], v[68:69], s[40:41], v[198:199] op_sel:[0,0,1] op_sel_hi:[1,0,0]
	v_mov_b32_e32 v210, v206
	v_mov_b32_e32 v211, v199
	v_pk_add_f32 v[208:209], v[210:211], v[208:209]
	v_pk_mul_f32 v[210:211], v[110:111], s[40:41]
	ds_write2_b64 v13, v[28:29], v[208:209] offset0:4 offset1:5
	v_pk_fma_f32 v[28:29], v[2:3], s[16:17], v[210:211] neg_lo:[1,0,0] neg_hi:[1,0,0]
	v_pk_fma_f32 v[208:209], v[2:3], s[16:17], v[210:211]
	v_mov_b32_e32 v217, v213
	v_mov_b32_e32 v29, v209
	v_pk_add_f32 v[28:29], v[0:1], v[28:29]
	v_pk_mul_f32 v[218:219], v[94:95], s[14:15] op_sel_hi:[1,0]
	v_pk_add_f32 v[28:29], v[216:217], v[28:29]
	v_pk_fma_f32 v[216:217], v[92:93], s[48:49], v[218:219] op_sel:[0,0,1] op_sel_hi:[1,0,0] neg_lo:[0,0,1] neg_hi:[0,0,1]
	v_pk_fma_f32 v[218:219], v[92:93], s[48:49], v[218:219] op_sel:[0,0,1] op_sel_hi:[1,0,0]
	v_mov_b32_e32 v220, v216
	v_mov_b32_e32 v221, v219
	v_pk_add_f32 v[28:29], v[220:221], v[28:29]
	v_pk_mul_f32 v[220:221], v[108:109], s[22:23] op_sel_hi:[1,0]
	s_mov_b32 s23, s34
	v_pk_fma_f32 v[224:225], v[106:107], s[34:35], v[220:221] op_sel:[0,0,1] op_sel_hi:[1,0,0] neg_lo:[0,0,1] neg_hi:[0,0,1]
	v_pk_fma_f32 v[220:221], v[106:107], s[34:35], v[220:221] op_sel:[0,0,1] op_sel_hi:[1,0,0]
	v_mov_b32_e32 v222, v224
	v_mov_b32_e32 v223, v221
	v_pk_add_f32 v[28:29], v[222:223], v[28:29]
	v_pk_mul_f32 v[222:223], v[98:99], s[54:55] op_sel_hi:[1,0]
	s_mov_b32 s35, s22
	v_pk_fma_f32 v[226:227], v[90:91], s[28:29], v[222:223] op_sel:[0,0,1] op_sel_hi:[1,0,0] neg_lo:[0,0,1] neg_hi:[0,0,1]
	v_pk_fma_f32 v[222:223], v[90:91], s[28:29], v[222:223] op_sel:[0,0,1] op_sel_hi:[1,0,0]
	v_mov_b32_e32 v228, v226
	v_mov_b32_e32 v229, v223
	v_pk_add_f32 v[28:29], v[228:229], v[28:29]
	v_pk_mul_f32 v[228:229], v[100:101], s[2:3] op_sel_hi:[1,0]
	v_accvgpr_write_b32 a3, v22
	v_pk_fma_f32 v[230:231], v[96:97], s[26:27], v[228:229] op_sel:[0,0,1] op_sel_hi:[1,0,0] neg_lo:[0,0,1] neg_hi:[0,0,1]
	v_pk_fma_f32 v[228:229], v[96:97], s[26:27], v[228:229] op_sel:[0,0,1] op_sel_hi:[1,0,0]
	v_mov_b32_e32 v232, v230
	v_mov_b32_e32 v233, v229
	v_pk_add_f32 v[28:29], v[232:233], v[28:29]
	v_pk_mul_f32 v[232:233], v[76:77], s[18:19] op_sel_hi:[1,0]
	s_mov_b32 s47, s15
	v_pk_fma_f32 v[234:235], v[72:73], s[42:43], v[232:233] op_sel:[0,0,1] op_sel_hi:[1,0,0] neg_lo:[0,0,1] neg_hi:[0,0,1]
	v_pk_fma_f32 v[232:233], v[72:73], s[42:43], v[232:233] op_sel:[0,0,1] op_sel_hi:[1,0,0]
	v_mov_b32_e32 v236, v234
	v_mov_b32_e32 v237, v233
	v_pk_add_f32 v[28:29], v[236:237], v[28:29]
	v_pk_mul_f32 v[236:237], v[84:85], s[44:45] op_sel_hi:[1,0]
	s_mov_b32 s45, s30
	v_pk_fma_f32 v[238:239], v[68:69], s[30:31], v[236:237] op_sel:[0,0,1] op_sel_hi:[1,0,0] neg_lo:[0,0,1] neg_hi:[0,0,1]
	v_pk_fma_f32 v[236:237], v[68:69], s[30:31], v[236:237] op_sel:[0,0,1] op_sel_hi:[1,0,0]
	v_mov_b32_e32 v240, v238
	v_mov_b32_e32 v241, v237
	v_pk_add_f32 v[28:29], v[240:241], v[28:29]
	v_pk_mul_f32 v[240:241], v[110:111], s[34:35]
	s_mov_b32 s31, s44
	v_pk_fma_f32 v[242:243], v[2:3], s[22:23], v[240:241] neg_lo:[1,0,0] neg_hi:[1,0,0]
	v_pk_fma_f32 v[244:245], v[2:3], s[22:23], v[240:241]
	v_pk_mul_f32 v[246:247], v[104:105], s[30:31]
	v_mov_b32_e32 v243, v245
	v_pk_fma_f32 v[248:249], v[102:103], s[44:45], v[246:247] op_sel:[1,0,0] op_sel_hi:[0,1,1] neg_lo:[1,0,0] neg_hi:[1,0,0]
	v_pk_fma_f32 v[250:251], v[52:53], s[44:45], v[246:247]
	v_pk_add_f32 v[242:243], v[0:1], v[242:243]
	v_mov_b32_e32 v249, v251
	v_pk_add_f32 v[242:243], v[248:249], v[242:243]
	v_pk_mul_f32 v[248:249], v[94:95], s[10:11] op_sel_hi:[1,0]
	v_pk_mul_f32 v[94:95], v[94:95], s[22:23] op_sel_hi:[1,0]
	v_pk_fma_f32 v[252:253], v[92:93], s[28:29], v[248:249] op_sel:[0,0,1] op_sel_hi:[1,0,0] neg_lo:[0,0,1] neg_hi:[0,0,1]
	v_pk_fma_f32 v[248:249], v[92:93], s[28:29], v[248:249] op_sel:[0,0,1] op_sel_hi:[1,0,0]
	v_mov_b32_e32 v22, v252
	v_mov_b32_e32 v23, v249
	v_pk_add_f32 v[22:23], v[22:23], v[242:243]
	v_pk_mul_f32 v[242:243], v[108:109], s[52:53] op_sel_hi:[1,0]
	v_mov_b32_e32 v249, v253
	v_pk_fma_f32 v[30:31], v[106:107], s[40:41], v[242:243] op_sel:[0,0,1] op_sel_hi:[1,0,0] neg_lo:[0,0,1] neg_hi:[0,0,1]
	v_pk_fma_f32 v[242:243], v[106:107], s[40:41], v[242:243] op_sel:[0,0,1] op_sel_hi:[1,0,0]
	v_mov_b32_e32 v254, v30
	v_mov_b32_e32 v255, v243
	v_pk_add_f32 v[22:23], v[254:255], v[22:23]
	v_pk_mul_f32 v[254:255], v[98:99], s[14:15] op_sel_hi:[1,0]
	v_pk_mul_f32 v[98:99], v[98:99], s[16:17] op_sel_hi:[1,0]
	v_pk_fma_f32 v[32:33], v[90:91], s[48:49], v[254:255] op_sel:[0,0,1] op_sel_hi:[1,0,0] neg_lo:[0,0,1] neg_hi:[0,0,1]
	v_pk_fma_f32 v[254:255], v[90:91], s[48:49], v[254:255] op_sel:[0,0,1] op_sel_hi:[1,0,0]
	v_mov_b32_e32 v78, v32
	v_mov_b32_e32 v79, v255
	v_pk_add_f32 v[22:23], v[78:79], v[22:23]
	v_pk_mul_f32 v[78:79], v[100:101], s[18:19] op_sel_hi:[1,0]
	v_mov_b32_e32 v243, v31
	v_pk_fma_f32 v[36:37], v[96:97], s[42:43], v[78:79] op_sel:[0,0,1] op_sel_hi:[1,0,0] neg_lo:[0,0,1] neg_hi:[0,0,1]
	v_pk_fma_f32 v[78:79], v[96:97], s[42:43], v[78:79] op_sel:[0,0,1] op_sel_hi:[1,0,0]
	v_mov_b32_e32 v24, v36
	v_mov_b32_e32 v25, v79
	v_pk_add_f32 v[22:23], v[24:25], v[22:23]
	v_pk_mul_f32 v[24:25], v[76:77], s[50:51] op_sel_hi:[1,0]
	v_pk_mul_f32 v[76:77], v[76:77], s[20:21] op_sel_hi:[1,0]
	v_pk_fma_f32 v[136:137], v[72:73], s[26:27], v[24:25] op_sel:[0,0,1] op_sel_hi:[1,0,0] neg_lo:[0,0,1] neg_hi:[0,0,1]
	v_pk_fma_f32 v[24:25], v[72:73], s[26:27], v[24:25] op_sel:[0,0,1] op_sel_hi:[1,0,0]
	v_mov_b32_e32 v132, v136
	v_mov_b32_e32 v133, v25
	v_pk_add_f32 v[22:23], v[132:133], v[22:23]
	v_pk_mul_f32 v[132:133], v[84:85], s[20:21] op_sel_hi:[1,0]
	v_mov_b32_e32 v255, v33
	v_pk_fma_f32 v[118:119], v[68:69], s[36:37], v[132:133] op_sel:[0,0,1] op_sel_hi:[1,0,0] neg_lo:[0,0,1] neg_hi:[0,0,1]
	v_pk_fma_f32 v[132:133], v[68:69], s[36:37], v[132:133] op_sel:[0,0,1] op_sel_hi:[1,0,0]
	v_mov_b32_e32 v140, v118
	v_mov_b32_e32 v141, v133
	v_pk_add_f32 v[22:23], v[140:141], v[22:23]
	ds_write2_b64 v13, v[28:29], v[22:23] offset0:6 offset1:7
	v_pk_mul_f32 v[22:23], v[108:109], s[50:51] op_sel_hi:[1,0]
	v_mov_b32_e32 v79, v37
	v_pk_fma_f32 v[28:29], v[106:107], s[26:27], v[22:23] op_sel:[0,0,1] op_sel_hi:[1,0,0] neg_lo:[0,0,1] neg_hi:[0,0,1]
	v_pk_fma_f32 v[22:23], v[106:107], s[26:27], v[22:23] op_sel:[0,0,1] op_sel_hi:[1,0,0]
	v_pk_fma_f32 v[106:107], v[90:91], s[40:41], v[98:99] op_sel:[0,0,1] op_sel_hi:[1,0,0] neg_lo:[0,0,1] neg_hi:[0,0,1]
	v_pk_fma_f32 v[90:91], v[90:91], s[40:41], v[98:99] op_sel:[0,0,1] op_sel_hi:[1,0,0]
	v_pk_mul_f32 v[98:99], v[100:101], s[44:45] op_sel_hi:[1,0]
	s_mov_b32 s26, s15
	v_pk_fma_f32 v[100:101], v[96:97], s[30:31], v[98:99] op_sel:[0,0,1] op_sel_hi:[1,0,0] neg_lo:[0,0,1] neg_hi:[0,0,1]
	v_pk_fma_f32 v[96:97], v[96:97], s[30:31], v[98:99] op_sel:[0,0,1] op_sel_hi:[1,0,0]
	v_pk_fma_f32 v[98:99], v[72:73], s[36:37], v[76:77] op_sel:[0,0,1] op_sel_hi:[1,0,0] neg_lo:[0,0,1] neg_hi:[0,0,1]
	v_pk_fma_f32 v[72:73], v[72:73], s[36:37], v[76:77] op_sel:[0,0,1] op_sel_hi:[1,0,0]
	v_pk_mul_f32 v[76:77], v[84:85], s[54:55] op_sel_hi:[1,0]
	s_mov_b32 s27, s46
	v_pk_fma_f32 v[84:85], v[68:69], s[28:29], v[76:77] op_sel:[0,0,1] op_sel_hi:[1,0,0] neg_lo:[0,0,1] neg_hi:[0,0,1]
	v_pk_fma_f32 v[68:69], v[68:69], s[28:29], v[76:77] op_sel:[0,0,1] op_sel_hi:[1,0,0]
	v_pk_mul_f32 v[76:77], v[110:111], s[42:43]
	v_pk_mul_f32 v[104:105], v[104:105], s[26:27]
	v_pk_fma_f32 v[108:109], v[2:3], s[18:19], v[76:77] neg_lo:[1,0,0] neg_hi:[1,0,0]
	v_pk_fma_f32 v[110:111], v[2:3], s[18:19], v[76:77]
	v_pk_fma_f32 v[102:103], v[102:103], s[46:47], v[104:105] op_sel:[1,0,0] op_sel_hi:[0,1,1] neg_lo:[1,0,0] neg_hi:[1,0,0]
	v_mov_b32_e32 v109, v111
	v_pk_fma_f32 v[140:141], v[52:53], s[46:47], v[104:105]
	v_pk_add_f32 v[108:109], v[0:1], v[108:109]
	v_mov_b32_e32 v103, v141
	v_pk_add_f32 v[102:103], v[102:103], v[108:109]
	v_pk_fma_f32 v[108:109], v[92:93], s[34:35], v[94:95] op_sel:[0,0,1] op_sel_hi:[1,0,0] neg_lo:[0,0,1] neg_hi:[0,0,1]
	v_pk_fma_f32 v[92:93], v[92:93], s[34:35], v[94:95] op_sel:[0,0,1] op_sel_hi:[1,0,0]
	v_mov_b32_e32 v94, v108
	v_mov_b32_e32 v95, v93
	v_pk_add_f32 v[94:95], v[94:95], v[102:103]
	v_mov_b32_e32 v102, v28
	v_mov_b32_e32 v103, v23
	;; [unrolled: 1-line block ×3, first 2 shown]
	v_pk_fma_f32 v[28:29], v[2:3], s[18:19], v[76:77] neg_lo:[0,0,1] neg_hi:[0,0,1]
	v_mov_b32_e32 v93, v109
	v_mov_b32_e32 v111, v29
	v_pk_fma_f32 v[28:29], v[52:53], s[46:47], v[104:105] neg_lo:[0,0,1] neg_hi:[0,0,1]
	v_pk_add_f32 v[94:95], v[102:103], v[94:95]
	v_mov_b32_e32 v141, v29
	v_pk_add_f32 v[28:29], v[0:1], v[110:111]
	v_mov_b32_e32 v102, v106
	;; [unrolled: 2-line block ×4, first 2 shown]
	v_pk_add_f32 v[22:23], v[22:23], v[28:29]
	v_pk_add_f32 v[94:95], v[102:103], v[94:95]
	v_mov_b32_e32 v102, v100
	v_mov_b32_e32 v103, v97
	v_mov_b32_e32 v97, v101
	v_pk_add_f32 v[22:23], v[90:91], v[22:23]
	v_pk_add_f32 v[94:95], v[102:103], v[94:95]
	v_mov_b32_e32 v102, v98
	v_mov_b32_e32 v103, v73
	v_mov_b32_e32 v73, v99
	;; [unrolled: 5-line block ×3, first 2 shown]
	v_pk_add_f32 v[22:23], v[72:73], v[22:23]
	v_pk_add_f32 v[94:95], v[102:103], v[94:95]
	;; [unrolled: 1-line block ×3, first 2 shown]
	ds_write2_b64 v13, v[94:95], v[22:23] offset0:8 offset1:9
	v_pk_fma_f32 v[22:23], v[2:3], s[22:23], v[240:241] neg_lo:[0,0,1] neg_hi:[0,0,1]
	v_mov_b32_e32 v25, v137
	v_mov_b32_e32 v245, v23
	v_pk_fma_f32 v[22:23], v[52:53], s[44:45], v[246:247] neg_lo:[0,0,1] neg_hi:[0,0,1]
	v_mov_b32_e32 v219, v217
	v_mov_b32_e32 v251, v23
	v_pk_add_f32 v[22:23], v[0:1], v[244:245]
	v_mov_b32_e32 v221, v225
	v_pk_add_f32 v[22:23], v[250:251], v[22:23]
	;; [unrolled: 2-line block ×7, first 2 shown]
	v_pk_fma_f32 v[24:25], v[2:3], s[16:17], v[210:211] neg_lo:[0,0,1] neg_hi:[0,0,1]
	v_pk_add_f32 v[22:23], v[132:133], v[22:23]
	v_mov_b32_e32 v209, v25
	v_pk_fma_f32 v[24:25], v[52:53], s[38:39], v[214:215] neg_lo:[0,0,1] neg_hi:[0,0,1]
	v_mov_b32_e32 v187, v185
	v_mov_b32_e32 v213, v25
	v_pk_add_f32 v[24:25], v[0:1], v[208:209]
	v_mov_b32_e32 v155, v153
	v_pk_add_f32 v[24:25], v[212:213], v[24:25]
	;; [unrolled: 2-line block ×8, first 2 shown]
	ds_write2_b64 v13, v[22:23], v[24:25] offset0:10 offset1:11
	v_pk_fma_f32 v[22:23], v[2:3], s[20:21], v[178:179] neg_lo:[0,0,1] neg_hi:[0,0,1]
	v_pk_fma_f32 v[24:25], v[2:3], s[10:11], v[146:147] neg_lo:[0,0,1] neg_hi:[0,0,1]
	v_mov_b32_e32 v177, v23
	v_pk_fma_f32 v[22:23], v[52:53], s[24:25], v[182:183] neg_lo:[0,0,1] neg_hi:[0,0,1]
	v_mov_b32_e32 v145, v25
	;; [unrolled: 2-line block ×3, first 2 shown]
	v_pk_add_f32 v[22:23], v[0:1], v[176:177]
	v_mov_b32_e32 v149, v25
	v_pk_add_f32 v[24:25], v[0:1], v[144:145]
	v_pk_add_f32 v[22:23], v[180:181], v[22:23]
	;; [unrolled: 1-line block ×9, first 2 shown]
	v_mov_b32_e32 v195, v205
	v_pk_add_f32 v[22:23], v[192:193], v[22:23]
	v_mov_b32_e32 v163, v173
	v_pk_add_f32 v[24:25], v[160:161], v[24:25]
	;; [unrolled: 2-line block ×4, first 2 shown]
	v_pk_add_f32 v[22:23], v[198:199], v[22:23]
	v_pk_add_f32 v[24:25], v[166:167], v[24:25]
	ds_write2_b64 v13, v[22:23], v[24:25] offset0:12 offset1:13
	v_pk_fma_f32 v[22:23], v[2:3], s[14:15], v[86:87] neg_lo:[0,0,1] neg_hi:[0,0,1]
	v_mov_b32_e32 v14, v38
	v_mov_b32_e32 v9, v23
	v_mov_b32_e32 v38, v40
	v_mov_b32_e32 v40, v42
	v_mov_b32_e32 v42, v44
	v_mov_b32_e32 v44, v10
	v_mov_b32_e32 v10, v4
	v_pk_add_f32 v[8:9], v[0:1], v[8:9]
	v_mov_b32_e32 v4, v12
	v_pk_add_f32 v[8:9], v[10:11], v[8:9]
	v_mov_b32_e32 v63, v49
	;; [unrolled: 2-line block ×5, first 2 shown]
	v_pk_add_f32 v[4:5], v[40:41], v[4:5]
	v_accvgpr_read_b32 v61, a9
	v_pk_add_f32 v[4:5], v[42:43], v[4:5]
	v_mov_b32_e32 v125, v89
	v_pk_add_f32 v[40:41], v[44:45], v[4:5]
	v_pk_fma_f32 v[4:5], v[2:3], s[12:13], v[114:115] neg_lo:[0,0,1] neg_hi:[0,0,1]
	v_pk_fma_f32 v[2:3], v[2:3], s[2:3], v[50:51] neg_lo:[0,0,1] neg_hi:[0,0,1]
	v_mov_b32_e32 v113, v5
	v_pk_fma_f32 v[4:5], v[52:53], s[16:17], v[6:7] neg_lo:[0,0,1] neg_hi:[0,0,1]
	v_mov_b32_e32 v49, v3
	;; [unrolled: 2-line block ×3, first 2 shown]
	v_pk_add_f32 v[4:5], v[0:1], v[112:113]
	v_mov_b32_e32 v55, v3
	v_pk_add_f32 v[0:1], v[0:1], v[48:49]
	v_pk_add_f32 v[4:5], v[116:117], v[4:5]
	;; [unrolled: 1-line block ×5, first 2 shown]
	v_mov_b32_e32 v127, v75
	v_pk_add_f32 v[4:5], v[124:125], v[4:5]
	v_pk_add_f32 v[0:1], v[62:63], v[0:1]
	v_mov_b32_e32 v129, v59
	v_pk_add_f32 v[4:5], v[126:127], v[4:5]
	v_pk_add_f32 v[0:1], v[64:65], v[0:1]
	v_mov_b32_e32 v131, v47
	v_pk_add_f32 v[4:5], v[128:129], v[4:5]
	v_accvgpr_read_b32 v71, a11
	v_pk_add_f32 v[0:1], v[66:67], v[0:1]
	v_mov_b32_e32 v135, v143
	v_pk_add_f32 v[4:5], v[130:131], v[4:5]
	v_accvgpr_read_b32 v81, a13
	v_pk_add_f32 v[0:1], v[70:71], v[0:1]
	v_pk_add_f32 v[4:5], v[134:135], v[4:5]
	;; [unrolled: 1-line block ×3, first 2 shown]
	ds_write2_b64 v13, v[4:5], v[0:1] offset0:14 offset1:15
	ds_write_b64 v13, v[40:41] offset:128
	v_accvgpr_read_b32 v4, a10
	v_lshl_add_u32 v94, v4, 3, v27
	v_accvgpr_read_b32 v4, a8
	v_lshl_add_u32 v93, v4, 3, v27
	;; [unrolled: 2-line block ×3, first 2 shown]
	v_accvgpr_read_b32 v4, a4
	v_accvgpr_read_b32 v87, a7
	;; [unrolled: 1-line block ×3, first 2 shown]
	v_lshl_add_u32 v91, v170, 3, v27
	v_lshl_add_u32 v90, v4, 3, v27
	v_accvgpr_read_b32 v4, a2
	v_mov_b32_e32 v95, v19
	s_waitcnt lgkmcnt(0)
	s_barrier
	ds_read2_b64 v[0:3], v0 offset0:66 offset1:134
	ds_read_b64 v[44:45], v87
	ds_read_b64 v[46:47], v94
	;; [unrolled: 1-line block ×4, first 2 shown]
	v_lshl_add_u32 v88, v82, 3, v27
	v_lshl_add_u32 v19, v4, 3, v27
	ds_read_b64 v[52:53], v91
	ds_read_b64 v[54:55], v90
	;; [unrolled: 1-line block ×4, first 2 shown]
	ds_read2_b64 v[8:11], v139 offset0:74 offset1:142
	v_accvgpr_read_b32 v4, a3
	ds_read2_b64 v[12:15], v4 offset0:82 offset1:150
	ds_read2_b64 v[4:7], v26 offset0:90 offset1:158
	v_accvgpr_read_b32 v22, a0
	v_accvgpr_write_b32 a1, v27
	v_cmp_gt_u32_e64 s[2:3], 34, v18
	v_lshlrev_b32_e32 v31, 3, v22
                                        ; implicit-def: $vgpr38
                                        ; implicit-def: $vgpr58
	s_and_saveexec_b64 s[10:11], s[2:3]
	s_cbranch_execz .LBB0_14
; %bb.13:
	v_add3_u32 v22, 0, v31, v138
	ds_read_b64 v[38:39], v95 offset:8976
	ds_read_b64 v[40:41], v22
	s_waitcnt lgkmcnt(1)
	v_mov_b32_e32 v58, v39
.LBB0_14:
	s_or_b64 exec, exec, s[10:11]
	s_mov_b32 s10, 0xf0f1
	v_mul_u32_u24_sdwa v24, v82, s10 dst_sel:DWORD dst_unused:UNUSED_PAD src0_sel:WORD_0 src1_sel:DWORD
	v_lshrrev_b32_e32 v26, 20, v24
	v_mul_lo_u16_e32 v24, 17, v26
	v_accvgpr_read_b32 v30, a0
	v_sub_u16_e32 v28, v82, v24
	v_mul_u32_u24_sdwa v24, v30, s10 dst_sel:DWORD dst_unused:UNUSED_PAD src0_sel:WORD_0 src1_sel:DWORD
	v_lshrrev_b32_e32 v27, 20, v24
	v_mul_u32_u24_sdwa v22, v171, s10 dst_sel:DWORD dst_unused:UNUSED_PAD src0_sel:WORD_0 src1_sel:DWORD
	v_mul_lo_u16_e32 v24, 17, v27
	v_lshrrev_b32_e32 v22, 20, v22
	v_sub_u16_e32 v33, v30, v24
	v_mul_lo_u16_e32 v23, 17, v22
	v_lshlrev_b32_e32 v24, 3, v33
	v_sub_u16_e32 v23, v171, v23
	global_load_dwordx2 v[24:25], v24, s[8:9]
	v_lshlrev_b32_e32 v28, 3, v28
	v_mul_u32_u24_sdwa v30, v170, s10 dst_sel:DWORD dst_unused:UNUSED_PAD src0_sel:WORD_0 src1_sel:DWORD
	v_lshlrev_b32_e32 v23, 3, v23
	global_load_dwordx2 v[36:37], v28, s[8:9]
	global_load_dwordx2 v[60:61], v23, s[8:9]
	v_lshrrev_b32_e32 v30, 20, v30
	v_accvgpr_read_b32 v64, a6
	v_mul_lo_u16_e32 v32, 17, v30
	v_mul_u32_u24_sdwa v34, v64, s10 dst_sel:DWORD dst_unused:UNUSED_PAD src0_sel:WORD_0 src1_sel:DWORD
	s_movk_i32 s11, 0xf1
	v_accvgpr_read_b32 v66, a8
	v_sub_u16_e32 v32, v170, v32
	v_lshrrev_b32_e32 v34, 20, v34
	v_mul_lo_u16_sdwa v29, v66, s11 dst_sel:DWORD dst_unused:UNUSED_PAD src0_sel:BYTE_0 src1_sel:DWORD
	v_lshlrev_b32_e32 v32, 3, v32
	v_mul_lo_u16_e32 v35, 17, v34
	v_accvgpr_read_b32 v70, a10
	global_load_dwordx2 v[62:63], v32, s[8:9]
	v_sub_u16_e32 v35, v64, v35
	v_lshrrev_b16_e32 v29, 12, v29
	v_mul_lo_u16_sdwa v68, v70, s11 dst_sel:DWORD dst_unused:UNUSED_PAD src0_sel:BYTE_0 src1_sel:DWORD
	v_lshlrev_b32_e32 v35, 3, v35
	global_load_dwordx2 v[64:65], v35, s[8:9]
	v_mul_lo_u16_e32 v39, 17, v29
	v_lshrrev_b16_e32 v74, 12, v68
	v_sub_u16_e32 v39, v66, v39
	v_mov_b32_e32 v59, 3
	v_mul_lo_u16_e32 v68, 17, v74
	v_lshlrev_b32_sdwa v39, v59, v39 dst_sel:DWORD dst_unused:UNUSED_PAD src0_sel:DWORD src1_sel:BYTE_0
	global_load_dwordx2 v[66:67], v39, s[8:9]
	v_sub_u16_e32 v68, v70, v68
	v_mul_lo_u16_sdwa v70, v18, s11 dst_sel:DWORD dst_unused:UNUSED_PAD src0_sel:BYTE_0 src1_sel:DWORD
	v_lshrrev_b16_e32 v76, 12, v70
	v_lshlrev_b32_sdwa v75, v59, v68 dst_sel:DWORD dst_unused:UNUSED_PAD src0_sel:DWORD src1_sel:BYTE_0
	global_load_dwordx2 v[68:69], v75, s[8:9]
	v_mul_lo_u16_e32 v70, 17, v76
	v_sub_u16_e32 v70, v18, v70
	v_lshlrev_b32_sdwa v77, v59, v70 dst_sel:DWORD dst_unused:UNUSED_PAD src0_sel:DWORD src1_sel:BYTE_0
	global_load_dwordx2 v[70:71], v77, s[8:9]
	v_mul_u32_u24_sdwa v59, v83, s10 dst_sel:DWORD dst_unused:UNUSED_PAD src0_sel:WORD_0 src1_sel:DWORD
	v_lshrrev_b32_e32 v84, 20, v59
	v_mul_lo_u16_e32 v59, 17, v84
	v_sub_u16_e32 v59, v83, v59
	v_lshlrev_b32_e32 v83, 3, v59
	global_load_dwordx2 v[72:73], v83, s[8:9]
	s_movk_i32 s10, 0x110
	v_mov_b32_e32 v59, 0
	v_mad_u32_u24 v74, v74, s10, 0
	v_mad_u32_u24 v76, v76, s10, 0
	v_add3_u32 v86, v74, v75, v138
	v_add3_u32 v85, v76, v77, v138
	s_mov_b32 s11, 0x5040100
	v_perm_b32 v22, v22, v30, s11
	v_pk_mul_lo_u16 v22, v22, s10 op_sel_hi:[1,0]
	v_mad_u32_u24 v29, v29, s10, 0
	v_and_b32_e32 v30, 0xfff0, v22
	v_mad_u32_u24 v34, v34, s10, 0
	v_add_u32_sdwa v22, v59, v22 dst_sel:DWORD dst_unused:UNUSED_PAD src0_sel:DWORD src1_sel:WORD_1
	v_add_u32_e32 v30, 0, v30
	v_add3_u32 v29, v29, v39, v138
	v_add3_u32 v34, v34, v35, v138
	;; [unrolled: 1-line block ×4, first 2 shown]
	s_waitcnt lgkmcnt(0)
	s_barrier
	s_waitcnt vmcnt(8)
	v_pk_mul_f32 v[74:75], v[58:59], v[24:25] op_sel_hi:[0,1]
	v_pk_fma_f32 v[80:81], v[38:39], v[24:25], v[74:75] op_sel:[0,0,1] op_sel_hi:[0,1,0]
	v_pk_fma_f32 v[24:25], v[38:39], v[24:25], v[74:75] op_sel:[0,0,1] op_sel_hi:[0,1,0] neg_lo:[0,0,1] neg_hi:[0,0,1]
	s_waitcnt vmcnt(7)
	v_pk_mul_f32 v[76:77], v[36:37], v[4:5] op_sel:[0,1]
	s_waitcnt vmcnt(6)
	v_pk_mul_f32 v[78:79], v[60:61], v[14:15] op_sel:[0,1]
	v_pk_fma_f32 v[74:75], v[36:37], v[4:5], v[76:77] op_sel:[0,0,1] op_sel_hi:[1,1,0] neg_lo:[0,0,1] neg_hi:[0,0,1]
	v_pk_fma_f32 v[4:5], v[36:37], v[4:5], v[76:77] op_sel:[0,0,1] op_sel_hi:[1,0,0]
	v_pk_fma_f32 v[36:37], v[60:61], v[14:15], v[78:79] op_sel:[0,0,1] op_sel_hi:[1,1,0] neg_lo:[0,0,1] neg_hi:[0,0,1]
	v_pk_fma_f32 v[14:15], v[60:61], v[14:15], v[78:79] op_sel:[0,0,1] op_sel_hi:[1,0,0]
	v_mov_b32_e32 v25, v81
	v_mov_b32_e32 v75, v5
	v_mov_b32_e32 v37, v15
	v_pk_add_f32 v[4:5], v[40:41], v[24:25] neg_lo:[0,1] neg_hi:[0,1]
	v_pk_add_f32 v[14:15], v[54:55], v[36:37] neg_lo:[0,1] neg_hi:[0,1]
	v_accvgpr_write_b32 a17, v5
	v_accvgpr_write_b32 a16, v4
	v_pk_add_f32 v[4:5], v[56:57], v[74:75] neg_lo:[0,1] neg_hi:[0,1]
	v_pk_fma_f32 v[36:37], v[54:55], 2.0, v[14:15] op_sel_hi:[1,0,1] neg_lo:[0,0,1] neg_hi:[0,0,1]
	s_waitcnt vmcnt(5)
	v_pk_mul_f32 v[54:55], v[62:63], v[12:13] op_sel:[0,1]
	v_pk_fma_f32 v[24:25], v[56:57], 2.0, v[4:5] op_sel_hi:[1,0,1] neg_lo:[0,0,1] neg_hi:[0,0,1]
	v_pk_fma_f32 v[56:57], v[62:63], v[12:13], v[54:55] op_sel:[0,0,1] op_sel_hi:[1,1,0] neg_lo:[0,0,1] neg_hi:[0,0,1]
	v_pk_fma_f32 v[12:13], v[62:63], v[12:13], v[54:55] op_sel:[0,0,1] op_sel_hi:[1,0,0]
	s_waitcnt vmcnt(4)
	v_pk_mul_f32 v[54:55], v[64:65], v[10:11] op_sel:[0,1]
	v_mov_b32_e32 v57, v13
	v_pk_add_f32 v[12:13], v[52:53], v[56:57] neg_lo:[0,1] neg_hi:[0,1]
	v_pk_fma_f32 v[56:57], v[64:65], v[10:11], v[54:55] op_sel:[0,0,1] op_sel_hi:[1,1,0] neg_lo:[0,0,1] neg_hi:[0,0,1]
	v_pk_fma_f32 v[10:11], v[64:65], v[10:11], v[54:55] op_sel:[0,0,1] op_sel_hi:[1,0,0]
	v_pk_fma_f32 v[52:53], v[52:53], 2.0, v[12:13] op_sel_hi:[1,0,1] neg_lo:[0,0,1] neg_hi:[0,0,1]
	v_mov_b32_e32 v57, v11
	s_waitcnt vmcnt(3)
	v_pk_mul_f32 v[54:55], v[66:67], v[8:9] op_sel:[0,1]
	v_pk_add_f32 v[10:11], v[50:51], v[56:57] neg_lo:[0,1] neg_hi:[0,1]
	v_pk_fma_f32 v[56:57], v[66:67], v[8:9], v[54:55] op_sel:[0,0,1] op_sel_hi:[1,1,0] neg_lo:[0,0,1] neg_hi:[0,0,1]
	v_pk_fma_f32 v[8:9], v[66:67], v[8:9], v[54:55] op_sel:[0,0,1] op_sel_hi:[1,0,0]
	v_pk_fma_f32 v[50:51], v[50:51], 2.0, v[10:11] op_sel_hi:[1,0,1] neg_lo:[0,0,1] neg_hi:[0,0,1]
	v_mov_b32_e32 v57, v9
	s_waitcnt vmcnt(2)
	v_pk_mul_f32 v[54:55], v[68:69], v[2:3] op_sel:[0,1]
	v_pk_add_f32 v[8:9], v[48:49], v[56:57] neg_lo:[0,1] neg_hi:[0,1]
	v_pk_fma_f32 v[56:57], v[68:69], v[2:3], v[54:55] op_sel:[0,0,1] op_sel_hi:[1,1,0] neg_lo:[0,0,1] neg_hi:[0,0,1]
	v_pk_fma_f32 v[2:3], v[68:69], v[2:3], v[54:55] op_sel:[0,0,1] op_sel_hi:[1,0,0]
	s_waitcnt vmcnt(1)
	v_pk_mul_f32 v[54:55], v[70:71], v[0:1] op_sel:[0,1]
	v_mov_b32_e32 v57, v3
	v_pk_add_f32 v[2:3], v[46:47], v[56:57] neg_lo:[0,1] neg_hi:[0,1]
	v_pk_fma_f32 v[56:57], v[70:71], v[0:1], v[54:55] op_sel:[0,0,1] op_sel_hi:[1,1,0] neg_lo:[0,0,1] neg_hi:[0,0,1]
	v_pk_fma_f32 v[0:1], v[70:71], v[0:1], v[54:55] op_sel:[0,0,1] op_sel_hi:[1,0,0]
	v_pk_fma_f32 v[48:49], v[48:49], 2.0, v[8:9] op_sel_hi:[1,0,1] neg_lo:[0,0,1] neg_hi:[0,0,1]
	v_mov_b32_e32 v57, v1
	v_pk_add_f32 v[0:1], v[44:45], v[56:57] neg_lo:[0,1] neg_hi:[0,1]
	v_pk_fma_f32 v[46:47], v[46:47], 2.0, v[2:3] op_sel_hi:[1,0,1] neg_lo:[0,0,1] neg_hi:[0,0,1]
	v_pk_fma_f32 v[44:45], v[44:45], 2.0, v[0:1] op_sel_hi:[1,0,1] neg_lo:[0,0,1] neg_hi:[0,0,1]
	ds_write2_b64 v85, v[44:45], v[0:1] offset1:17
	ds_write2_b64 v86, v[46:47], v[2:3] offset1:17
	;; [unrolled: 1-line block ×6, first 2 shown]
	v_perm_b32 v0, v84, v26, s11
	v_pk_mul_lo_u16 v0, v0, s10 op_sel_hi:[1,0]
	s_nop 0
	v_and_b32_e32 v1, 0xfff0, v0
	v_add_u32_e32 v1, 0, v1
	v_add3_u32 v1, v1, v28, v138
	v_add_u32_sdwa v0, v59, v0 dst_sel:DWORD dst_unused:UNUSED_PAD src0_sel:DWORD src1_sel:WORD_1
	ds_write2_b64 v1, v[24:25], v[4:5] offset1:17
	v_add3_u32 v4, v0, v83, v138
	s_waitcnt vmcnt(0)
	v_pk_mul_f32 v[0:1], v[6:7], v[72:73] op_sel:[0,1]
	s_nop 0
	v_pk_fma_f32 v[2:3], v[6:7], v[72:73], v[0:1] op_sel:[0,0,1] op_sel_hi:[1,1,0] neg_lo:[0,0,1] neg_hi:[0,0,1]
	v_pk_fma_f32 v[0:1], v[6:7], v[72:73], v[0:1] op_sel:[0,0,1] op_sel_hi:[1,0,0]
	s_nop 0
	v_mov_b32_e32 v3, v1
	v_pk_add_f32 v[0:1], v[42:43], v[2:3] neg_lo:[0,1] neg_hi:[0,1]
	s_nop 0
	v_pk_fma_f32 v[2:3], v[42:43], 2.0, v[0:1] op_sel_hi:[1,0,1] neg_lo:[0,0,1] neg_hi:[0,0,1]
	ds_write2_b64 v4, v[2:3], v[0:1] offset1:17
	s_and_saveexec_b64 s[10:11], s[2:3]
	s_cbranch_execz .LBB0_16
; %bb.15:
	v_mul_lo_u16_e32 v0, 34, v27
	v_accvgpr_read_b32 v4, a16
	v_lshl_add_u32 v1, v33, 3, 0
	v_lshlrev_b32_e32 v0, 3, v0
	v_accvgpr_read_b32 v5, a17
	v_add3_u32 v2, v1, v0, v138
	v_pk_fma_f32 v[0:1], v[40:41], 2.0, v[4:5] op_sel_hi:[1,0,1] neg_lo:[0,0,1] neg_hi:[0,0,1]
	ds_write2_b64 v2, v[0:1], v[4:5] offset1:17
.LBB0_16:
	s_or_b64 exec, exec, s[10:11]
	v_subrev_u32_e32 v132, 34, v18
	v_cndmask_b32_e64 v22, v132, v18, s[2:3]
	v_lshlrev_b32_e32 v58, 4, v22
	v_lshl_add_u64 v[14:15], v[58:59], 3, s[8:9]
	s_waitcnt lgkmcnt(0)
	s_barrier
	global_load_dwordx4 v[2:5], v[14:15], off offset:136
	global_load_dwordx4 v[6:9], v[14:15], off offset:152
	;; [unrolled: 1-line block ×6, first 2 shown]
	v_add3_u32 v23, 0, v31, v138
	v_add_u32_e32 v171, 0x1400, v95
	ds_read_b64 v[0:1], v87
	ds_read_b64 v[32:33], v94
	;; [unrolled: 1-line block ×8, first 2 shown]
	v_add_u32_e32 v24, 0x1000, v95
	ds_read2_b64 v[60:63], v171 offset0:108 offset1:176
	ds_read_b64 v[76:77], v23
	ds_read2_b64 v[50:53], v24 offset0:100 offset1:168
	global_load_dwordx4 v[68:71], v[14:15], off offset:248
	v_accvgpr_write_b32 a3, v87
	global_load_dwordx4 v[84:87], v[14:15], off offset:232
	v_accvgpr_write_b32 a18, v23
                                        ; kill: killed $vgpr14_vgpr15
	v_accvgpr_write_b32 a19, v24
	v_accvgpr_write_b32 a13, v92
	;; [unrolled: 1-line block ×6, first 2 shown]
	s_mov_b32 s10, 0xbf4c4adb
	s_mov_b32 s18, 0xbf1a4643
	;; [unrolled: 1-line block ×6, first 2 shown]
	v_cmp_lt_u32_e32 vcc, 33, v18
	v_add_u32_e32 v133, 0x1800, v95
	v_accvgpr_write_b32 a7, v19
	v_add_u32_e32 v83, 0x1c00, v95
	s_mov_b32 s16, 0xbf65296c
	s_mov_b32 s14, 0xbf7ee86f
	s_mov_b32 s36, 0x3ee437d1
	s_mov_b32 s40, 0x3dbcf732
	s_mov_b32 s28, 0xbeb8f4ab
	s_mov_b32 s29, 0x3f6eb680
	s_mov_b32 s22, 0xbf2c7751
	s_mov_b32 s54, s29
	s_mov_b32 s55, s28
	s_mov_b32 s23, 0x3f3d2fb0
	s_mov_b32 s38, s23
	s_mov_b32 s39, s22
	s_mov_b32 s24, 0xbf763a35
	s_mov_b32 s44, 0xbe8c1d8e
	v_accvgpr_write_b32 a12, v91
	s_mov_b32 s46, 0x3f65296c
	s_mov_b32 s42, 0x3f06c442
	;; [unrolled: 1-line block ×10, first 2 shown]
	s_waitcnt vmcnt(7) lgkmcnt(9)
	v_mul_f32_e32 v15, v3, v33
	v_mul_f32_e32 v23, v3, v32
	s_waitcnt lgkmcnt(8)
	v_mul_f32_e32 v3, v5, v37
	v_mul_f32_e32 v25, v5, v36
	s_waitcnt vmcnt(6)
	v_mov_b32_e32 v14, v9
	s_waitcnt vmcnt(5)
	v_mov_b32_e32 v30, v13
	s_waitcnt lgkmcnt(7)
	v_mul_f32_e32 v5, v7, v59
	v_mul_f32_e32 v26, v7, v58
	s_waitcnt lgkmcnt(6)
	v_pk_mul_f32 v[78:79], v[64:65], v[8:9] op_sel:[1,0] op_sel_hi:[0,1]
	v_mov_b32_e32 v24, v11
	s_waitcnt lgkmcnt(3)
	v_pk_mul_f32 v[80:81], v[74:75], v[10:11] op_sel:[1,0] op_sel_hi:[0,1]
	s_waitcnt vmcnt(3) lgkmcnt(0)
	v_pk_mul_f32 v[92:93], v[50:51], v[46:47] op_sel:[0,1]
	v_mov_b32_e32 v94, v49
	s_waitcnt vmcnt(2)
	v_pk_mul_f32 v[96:97], v[60:61], v[54:55] op_sel:[0,1]
	v_fma_f32 v27, v2, v32, -v15
	v_fmac_f32_e32 v23, v2, v33
	v_fma_f32 v28, v4, v36, -v3
	v_fmac_f32_e32 v25, v4, v37
	v_pk_mul_f32 v[2:3], v[64:65], v[14:15] op_sel:[1,0] op_sel_hi:[0,1]
	v_pk_mul_f32 v[14:15], v[72:73], v[30:31] op_sel_hi:[1,0]
	v_pk_mul_f32 v[88:89], v[66:67], v[42:43] op_sel:[0,1]
	v_mov_b32_e32 v90, v45
	v_fma_f32 v29, v6, v58, -v5
	v_fmac_f32_e32 v26, v6, v59
	v_pk_mul_f32 v[4:5], v[74:75], v[24:25] op_sel:[1,0] op_sel_hi:[0,1]
	v_mov_b32_e32 v6, v78
	v_mov_b32_e32 v7, v80
	;; [unrolled: 1-line block ×3, first 2 shown]
	v_pk_fma_f32 v[58:59], v[50:51], v[46:47], v[92:93] op_sel:[0,0,1] op_sel_hi:[1,1,0] neg_lo:[0,0,1] neg_hi:[0,0,1]
	v_pk_fma_f32 v[46:47], v[50:51], v[46:47], v[92:93] op_sel:[0,0,1] op_sel_hi:[1,0,0]
	v_pk_mul_f32 v[50:51], v[52:53], v[94:95] op_sel_hi:[1,0]
	v_pk_fma_f32 v[98:99], v[60:61], v[54:55], v[96:97] op_sel:[0,0,1] op_sel_hi:[1,1,0] neg_lo:[0,0,1] neg_hi:[0,0,1]
	v_pk_fma_f32 v[54:55], v[60:61], v[54:55], v[96:97] op_sel:[0,0,1] op_sel_hi:[1,0,0]
	v_pk_fma_f32 v[64:65], v[64:65], v[8:9], v[2:3] neg_lo:[0,0,1] neg_hi:[0,0,1]
	v_pk_fma_f32 v[96:97], v[72:73], v[12:13], v[14:15] op_sel:[0,0,1] op_sel_hi:[1,1,0] neg_lo:[0,0,1] neg_hi:[0,0,1]
	v_pk_fma_f32 v[2:3], v[72:73], v[12:13], v[14:15] op_sel:[0,0,1] op_sel_hi:[1,0,0]
	v_pk_fma_f32 v[36:37], v[66:67], v[42:43], v[88:89] op_sel:[0,0,1] op_sel_hi:[1,1,0] neg_lo:[0,0,1] neg_hi:[0,0,1]
	v_pk_fma_f32 v[32:33], v[66:67], v[42:43], v[88:89] op_sel:[0,0,1] op_sel_hi:[1,0,0]
	v_pk_mul_f32 v[42:43], v[76:77], v[90:91] op_sel_hi:[1,0]
	v_pk_fma_f32 v[10:11], v[74:75], v[10:11], v[4:5] neg_lo:[0,0,1] neg_hi:[0,0,1]
	v_pk_add_f32 v[74:75], v[6:7], v[80:81]
	v_pk_fma_f32 v[14:15], v[52:53], v[48:49], v[50:51] op_sel:[0,0,1] op_sel_hi:[1,1,0] neg_lo:[0,0,1] neg_hi:[0,0,1]
	v_pk_fma_f32 v[6:7], v[52:53], v[48:49], v[50:51] op_sel:[0,0,1] op_sel_hi:[1,0,0]
	v_mov_b32_e32 v99, v55
	v_mov_b32_e32 v97, v3
	;; [unrolled: 1-line block ×3, first 2 shown]
	v_pk_fma_f32 v[12:13], v[76:77], v[44:45], v[42:43] op_sel:[0,0,1] op_sel_hi:[1,1,0] neg_lo:[0,0,1] neg_hi:[0,0,1]
	v_pk_fma_f32 v[4:5], v[76:77], v[44:45], v[42:43] op_sel:[0,0,1] op_sel_hi:[1,0,0]
	v_mov_b32_e32 v15, v7
	v_pk_add_f32 v[52:53], v[96:97], v[98:99] neg_lo:[0,1] neg_hi:[0,1]
	v_mov_b32_e32 v59, v47
	v_mov_b32_e32 v13, v5
	v_pk_add_f32 v[50:51], v[96:97], v[98:99]
	v_pk_add_f32 v[60:61], v[36:37], v[14:15] neg_lo:[0,1] neg_hi:[0,1]
	v_pk_mul_f32 v[2:3], v[52:53], s[10:11] op_sel:[1,0] op_sel_hi:[0,0]
	v_pk_add_f32 v[54:55], v[36:37], v[14:15]
	v_pk_fma_f32 v[30:31], v[50:51], s[18:19], v[2:3] op_sel_hi:[1,0,1]
	v_pk_fma_f32 v[42:43], v[50:51], s[18:19], v[2:3] op_sel_hi:[1,0,1] neg_lo:[0,0,1] neg_hi:[0,0,1]
	v_pk_mul_f32 v[2:3], v[60:61], s[20:21] op_sel:[1,0] op_sel_hi:[0,0]
	v_pk_add_f32 v[72:73], v[12:13], v[58:59] neg_lo:[0,1] neg_hi:[0,1]
	v_pk_fma_f32 v[32:33], v[54:55], s[26:27], v[2:3] op_sel_hi:[1,0,1]
	v_pk_fma_f32 v[44:45], v[54:55], s[26:27], v[2:3] op_sel_hi:[1,0,1] neg_lo:[0,0,1] neg_hi:[0,0,1]
	v_pk_add_f32 v[66:67], v[12:13], v[58:59]
	v_pk_mul_f32 v[2:3], v[72:73], s[12:13] op_sel:[1,0] op_sel_hi:[0,0]
	v_pk_fma_f32 v[34:35], v[66:67], s[30:31], v[2:3] op_sel_hi:[1,0,1]
	v_pk_fma_f32 v[46:47], v[66:67], s[30:31], v[2:3] op_sel_hi:[1,0,1] neg_lo:[0,0,1] neg_hi:[0,0,1]
	v_mov_b32_e32 v2, 0x1210
	v_cndmask_b32_e32 v2, 0, v2, vcc
	v_add_u32_e32 v2, 0, v2
	v_lshlrev_b32_e32 v3, 3, v22
	v_add3_u32 v19, v2, v3, v138
	ds_read2_b64 v[2:5], v133 offset0:116 offset1:184
	v_mov_b32_e32 v24, v57
	v_pk_mul_f32 v[48:49], v[62:63], v[24:25] op_sel_hi:[1,0]
	ds_read2_b64 v[6:9], v83 offset0:124 offset1:192
	v_pk_fma_f32 v[100:101], v[62:63], v[56:57], v[48:49] op_sel:[0,0,1] op_sel_hi:[1,1,0] neg_lo:[0,0,1] neg_hi:[0,0,1]
	v_pk_fma_f32 v[48:49], v[62:63], v[56:57], v[48:49] op_sel:[0,0,1] op_sel_hi:[1,0,0]
	v_mov_b32_e32 v65, v74
	v_mov_b32_e32 v101, v49
	s_waitcnt vmcnt(0) lgkmcnt(1)
	v_pk_mul_f32 v[48:49], v[2:3], v[84:85] op_sel:[0,1]
	v_mov_b32_e32 v11, v75
	v_pk_fma_f32 v[56:57], v[2:3], v[84:85], v[48:49] op_sel:[0,0,1] op_sel_hi:[1,1,0] neg_lo:[0,0,1] neg_hi:[0,0,1]
	v_pk_fma_f32 v[2:3], v[2:3], v[84:85], v[48:49] op_sel:[0,0,1] op_sel_hi:[1,0,0]
	v_pk_add_f32 v[108:109], v[10:11], v[100:101]
	v_mov_b32_e32 v2, v87
	v_mov_b32_e32 v57, v3
	v_pk_mul_f32 v[2:3], v[4:5], v[2:3] op_sel_hi:[1,0]
	v_pk_add_f32 v[106:107], v[64:65], v[56:57] neg_lo:[0,1] neg_hi:[0,1]
	v_pk_fma_f32 v[48:49], v[4:5], v[86:87], v[2:3] op_sel:[0,0,1] op_sel_hi:[1,0,0] neg_lo:[0,0,1] neg_hi:[0,0,1]
	v_pk_fma_f32 v[62:63], v[4:5], v[86:87], v[2:3] op_sel:[0,0,1] op_sel_hi:[1,0,0]
	s_waitcnt lgkmcnt(0)
	v_pk_mul_f32 v[2:3], v[6:7], v[68:69] op_sel:[0,1]
	v_sub_f32_e32 v87, v29, v48
	v_pk_fma_f32 v[110:111], v[6:7], v[68:69], v[2:3] op_sel:[0,0,1] op_sel_hi:[1,0,0] neg_lo:[0,0,1] neg_hi:[0,0,1]
	v_pk_fma_f32 v[6:7], v[6:7], v[68:69], v[2:3] op_sel:[0,0,1] op_sel_hi:[1,0,0]
	v_mov_b32_e32 v2, v71
	v_pk_mul_f32 v[2:3], v[8:9], v[2:3] op_sel_hi:[1,0]
	v_sub_f32_e32 v86, v26, v63
	v_pk_fma_f32 v[68:69], v[8:9], v[70:71], v[2:3] op_sel:[0,0,1] op_sel_hi:[1,0,0] neg_lo:[0,0,1] neg_hi:[0,0,1]
	v_pk_fma_f32 v[4:5], v[8:9], v[70:71], v[2:3] op_sel:[0,0,1] op_sel_hi:[1,0,0]
	v_mov_b32_e32 v111, v7
	v_mov_b32_e32 v69, v5
	v_add_f32_e32 v3, v23, v5
	v_sub_f32_e32 v2, v23, v5
	v_add_f32_e32 v5, v25, v7
	v_sub_f32_e32 v4, v25, v7
	v_add_f32_e32 v84, v29, v48
	v_add_f32_e32 v85, v26, v63
	v_pk_mul_f32 v[6:7], v[86:87], s[16:17] op_sel_hi:[1,0]
	v_pk_add_f32 v[104:105], v[64:65], v[56:57]
	v_pk_mul_f32 v[8:9], v[106:107], s[14:15] op_sel:[1,0] op_sel_hi:[0,0]
	v_pk_fma_f32 v[136:137], v[84:85], s[36:37], v[6:7] op_sel_hi:[1,0,1]
	v_pk_fma_f32 v[6:7], v[84:85], s[36:37], v[6:7] op_sel_hi:[1,0,1] neg_lo:[0,0,1] neg_hi:[0,0,1]
	v_pk_fma_f32 v[144:145], v[104:105], s[40:41], v[8:9] op_sel_hi:[1,0,1]
	v_pk_fma_f32 v[8:9], v[104:105], s[40:41], v[8:9] op_sel_hi:[1,0,1] neg_lo:[0,0,1] neg_hi:[0,0,1]
	v_mov_b32_e32 v139, v7
	v_mov_b32_e32 v143, v9
	v_add_f32_e32 v7, v27, v0
	v_add_f32_e32 v9, v23, v1
	;; [unrolled: 1-line block ×7, first 2 shown]
	v_sub_f32_e32 v103, v27, v68
	v_add_f32_e32 v7, v7, v64
	v_add_f32_e32 v9, v9, v74
	;; [unrolled: 1-line block ×3, first 2 shown]
	v_sub_f32_e32 v89, v28, v110
	v_pk_add_f32 v[112:113], v[10:11], v[100:101] neg_lo:[0,1] neg_hi:[0,1]
	v_add_f32_e32 v10, v7, v10
	v_add_f32_e32 v11, v9, v75
	v_pk_mul_f32 v[162:163], v[102:103], s[54:55]
	v_pk_mul_f32 v[180:181], v[88:89], s[38:39]
	v_pk_fma_f32 v[64:65], v[2:3], s[28:29], v[162:163] neg_lo:[1,0,0] neg_hi:[1,0,0]
	v_pk_fma_f32 v[160:161], v[2:3], s[28:29], v[162:163]
	v_pk_add_f32 v[10:11], v[10:11], v[96:97]
	v_mov_b32_e32 v65, v161
	v_pk_fma_f32 v[70:71], v[4:5], s[22:23], v[180:181] neg_lo:[1,0,0] neg_hi:[1,0,0]
	v_pk_fma_f32 v[178:179], v[4:5], s[22:23], v[180:181]
	v_pk_add_f32 v[10:11], v[10:11], v[36:37]
	v_pk_add_f32 v[64:65], v[64:65], v[0:1]
	v_mov_b32_e32 v71, v179
	v_pk_add_f32 v[10:11], v[10:11], v[12:13]
	v_mov_b32_e32 v49, v63
	v_pk_mul_f32 v[62:63], v[112:113], s[24:25] op_sel:[1,0] op_sel_hi:[0,0]
	v_pk_add_f32 v[64:65], v[70:71], v[64:65]
	v_pk_add_f32 v[10:11], v[10:11], v[58:59]
	v_mov_b32_e32 v7, v137
	v_pk_fma_f32 v[148:149], v[108:109], s[44:45], v[62:63] op_sel_hi:[1,0,1]
	v_pk_fma_f32 v[62:63], v[108:109], s[44:45], v[62:63] op_sel_hi:[1,0,1] neg_lo:[0,0,1] neg_hi:[0,0,1]
	v_pk_add_f32 v[10:11], v[10:11], v[14:15]
	v_pk_add_f32 v[6:7], v[6:7], v[64:65]
	v_mov_b32_e32 v9, v145
	v_mov_b32_e32 v147, v63
	v_pk_add_f32 v[10:11], v[10:11], v[98:99]
	v_pk_add_f32 v[6:7], v[8:9], v[6:7]
	v_mov_b32_e32 v63, v149
	v_mov_b32_e32 v77, v43
	v_mov_b32_e32 v43, v31
	v_pk_add_f32 v[10:11], v[10:11], v[100:101]
	v_pk_add_f32 v[6:7], v[62:63], v[6:7]
	v_mov_b32_e32 v81, v45
	v_mov_b32_e32 v45, v33
	v_pk_add_f32 v[10:11], v[10:11], v[56:57]
	v_pk_add_f32 v[6:7], v[42:43], v[6:7]
	v_mov_b32_e32 v137, v95
	v_pk_mul_f32 v[94:95], v[102:103], s[38:39]
	s_mov_b32 s41, s14
	v_mov_b32_e32 v91, v47
	v_mov_b32_e32 v47, v35
	v_pk_add_f32 v[10:11], v[10:11], v[48:49]
	v_pk_add_f32 v[6:7], v[44:45], v[6:7]
	v_pk_fma_f32 v[100:101], v[2:3], s[22:23], v[94:95] neg_lo:[1,0,0] neg_hi:[1,0,0]
	v_pk_fma_f32 v[40:41], v[2:3], s[22:23], v[94:95]
	s_mov_b32 s15, s40
	v_pk_mul_f32 v[92:93], v[88:89], s[40:41]
	v_mov_b32_e32 v59, v85
	v_mov_b32_e32 v85, v87
	s_mov_b32 s19, s10
	v_pk_add_f32 v[10:11], v[10:11], v[110:111]
	v_pk_add_f32 v[6:7], v[46:47], v[6:7]
	v_mov_b32_e32 v101, v41
	v_pk_fma_f32 v[110:111], v[4:5], s[14:15], v[92:93] neg_lo:[1,0,0] neg_hi:[1,0,0]
	v_pk_fma_f32 v[46:47], v[4:5], s[14:15], v[92:93]
	v_mov_b32_e32 v58, v86
	s_mov_b32 s11, s18
	v_pk_mul_f32 v[78:79], v[84:85], s[18:19]
	v_pk_mul_f32 v[8:9], v[60:61], s[46:47] op_sel:[1,0] op_sel_hi:[0,0]
	v_mov_b32_e32 v111, v47
	v_pk_fma_f32 v[114:115], v[86:87], s[10:11], v[78:79] neg_lo:[1,0,0] neg_hi:[1,0,0]
	v_pk_fma_f32 v[62:63], v[58:59], s[10:11], v[78:79]
	v_pk_mul_f32 v[64:65], v[106:107], s[12:13] op_sel:[1,0] op_sel_hi:[0,0]
	v_pk_add_f32 v[100:101], v[100:101], v[0:1]
	v_pk_add_f32 v[10:11], v[10:11], v[68:69]
	v_pk_fma_f32 v[96:97], v[54:55], s[36:37], v[8:9] op_sel_hi:[1,0,1] neg_lo:[0,0,1] neg_hi:[0,0,1]
	v_pk_fma_f32 v[44:45], v[54:55], s[36:37], v[8:9] op_sel_hi:[1,0,1]
	v_mov_b32_e32 v115, v63
	v_pk_fma_f32 v[116:117], v[104:105], s[30:31], v[64:65] op_sel_hi:[1,0,1] neg_lo:[0,0,1] neg_hi:[0,0,1]
	v_pk_fma_f32 v[64:65], v[104:105], s[30:31], v[64:65] op_sel_hi:[1,0,1]
	v_pk_mul_f32 v[74:75], v[112:113], s[42:43] op_sel:[1,0] op_sel_hi:[0,0]
	v_pk_add_f32 v[100:101], v[110:111], v[100:101]
	s_mov_b32 s37, s16
	s_barrier
	ds_write2_b64 v19, v[10:11], v[6:7] offset1:34
	v_pk_mul_f32 v[6:7], v[52:53], s[34:35] op_sel:[1,0] op_sel_hi:[0,0]
	v_accvgpr_write_b32 a23, v117
	v_mov_b32_e32 v117, v65
	v_pk_fma_f32 v[118:119], v[108:109], s[26:27], v[74:75] op_sel_hi:[1,0,1] neg_lo:[0,0,1] neg_hi:[0,0,1]
	v_pk_fma_f32 v[74:75], v[108:109], s[26:27], v[74:75] op_sel_hi:[1,0,1]
	v_pk_add_f32 v[100:101], v[114:115], v[100:101]
	s_mov_b32 s17, s36
	v_pk_mul_f32 v[122:123], v[102:103], s[36:37]
	s_mov_b32 s38, 0x3e3c28d5
	v_pk_fma_f32 v[36:37], v[50:51], s[44:45], v[6:7] op_sel_hi:[1,0,1] neg_lo:[0,0,1] neg_hi:[0,0,1]
	v_pk_fma_f32 v[48:49], v[50:51], s[44:45], v[6:7] op_sel_hi:[1,0,1]
	v_accvgpr_write_b32 a25, v119
	v_mov_b32_e32 v119, v75
	v_pk_add_f32 v[100:101], v[116:117], v[100:101]
	v_pk_fma_f32 v[156:157], v[2:3], s[16:17], v[122:123] neg_lo:[1,0,0] neg_hi:[1,0,0]
	v_pk_fma_f32 v[114:115], v[2:3], s[16:17], v[122:123]
	v_pk_mul_f32 v[124:125], v[88:89], s[18:19]
	s_mov_b32 s31, s38
	v_mov_b32_e32 v145, v37
	v_mov_b32_e32 v37, v49
	v_pk_mul_f32 v[10:11], v[72:73], s[48:49] op_sel:[1,0] op_sel_hi:[0,0]
	v_pk_add_f32 v[100:101], v[118:119], v[100:101]
	v_mov_b32_e32 v157, v115
	v_pk_fma_f32 v[158:159], v[4:5], s[10:11], v[124:125] neg_lo:[1,0,0] neg_hi:[1,0,0]
	v_pk_fma_f32 v[120:121], v[4:5], s[10:11], v[124:125]
	s_mov_b32 s39, s30
	v_pk_mul_f32 v[130:131], v[84:85], s[30:31]
	v_mov_b32_e32 v149, v97
	v_mov_b32_e32 v97, v45
	v_pk_fma_f32 v[98:99], v[66:67], s[52:53], v[10:11] op_sel_hi:[1,0,1] neg_lo:[0,0,1] neg_hi:[0,0,1]
	v_pk_fma_f32 v[42:43], v[66:67], s[52:53], v[10:11] op_sel_hi:[1,0,1]
	v_pk_add_f32 v[36:37], v[36:37], v[100:101]
	v_mov_b32_e32 v159, v121
	v_pk_fma_f32 v[164:165], v[86:87], s[38:39], v[130:131] neg_lo:[1,0,0] neg_hi:[1,0,0]
	v_pk_fma_f32 v[126:127], v[58:59], s[38:39], v[130:131]
	v_pk_mul_f32 v[128:129], v[106:107], s[34:35] op_sel:[1,0] op_sel_hi:[0,0]
	v_pk_add_f32 v[156:157], v[156:157], v[0:1]
	v_accvgpr_write_b32 a21, v99
	v_mov_b32_e32 v99, v43
	v_pk_add_f32 v[36:37], v[96:97], v[36:37]
	v_mov_b32_e32 v165, v127
	v_pk_fma_f32 v[116:117], v[104:105], s[44:45], v[128:129] op_sel_hi:[1,0,1] neg_lo:[0,0,1] neg_hi:[0,0,1]
	v_pk_fma_f32 v[128:129], v[104:105], s[44:45], v[128:129] op_sel_hi:[1,0,1]
	v_pk_mul_f32 v[134:135], v[112:113], s[50:51] op_sel:[1,0] op_sel_hi:[0,0]
	v_pk_add_f32 v[156:157], v[158:159], v[156:157]
	v_pk_add_f32 v[118:119], v[98:99], v[36:37]
	v_pk_mul_f32 v[36:37], v[52:53], s[28:29] op_sel:[1,0] op_sel_hi:[0,0]
	v_mov_b32_e32 v166, v116
	v_mov_b32_e32 v167, v129
	v_pk_fma_f32 v[110:111], v[108:109], s[56:57], v[134:135] op_sel_hi:[1,0,1] neg_lo:[0,0,1] neg_hi:[0,0,1]
	v_pk_fma_f32 v[134:135], v[108:109], s[56:57], v[134:135] op_sel_hi:[1,0,1]
	v_pk_add_f32 v[156:157], v[164:165], v[156:157]
	v_pk_fma_f32 v[150:151], v[50:51], s[52:53], v[36:37] op_sel_hi:[1,0,1] neg_lo:[0,0,1] neg_hi:[0,0,1]
	v_pk_fma_f32 v[96:97], v[50:51], s[52:53], v[36:37] op_sel_hi:[1,0,1]
	v_pk_mul_f32 v[36:37], v[60:61], s[14:15] op_sel:[1,0] op_sel_hi:[0,0]
	v_mov_b32_e32 v168, v110
	v_mov_b32_e32 v169, v135
	v_pk_add_f32 v[156:157], v[166:167], v[156:157]
	v_mov_b32_e32 v41, v151
	v_mov_b32_e32 v151, v97
	v_pk_fma_f32 v[152:153], v[54:55], s[40:41], v[36:37] op_sel_hi:[1,0,1] neg_lo:[0,0,1] neg_hi:[0,0,1]
	v_pk_fma_f32 v[98:99], v[54:55], s[40:41], v[36:37] op_sel_hi:[1,0,1]
	v_pk_mul_f32 v[36:37], v[72:73], s[20:21] op_sel:[1,0] op_sel_hi:[0,0]
	v_pk_add_f32 v[156:157], v[168:169], v[156:157]
	v_mov_b32_e32 v43, v153
	v_mov_b32_e32 v153, v99
	v_pk_fma_f32 v[154:155], v[66:67], s[26:27], v[36:37] op_sel_hi:[1,0,1] neg_lo:[0,0,1] neg_hi:[0,0,1]
	v_pk_fma_f32 v[100:101], v[66:67], s[26:27], v[36:37] op_sel_hi:[1,0,1]
	v_pk_add_f32 v[150:151], v[150:151], v[156:157]
	v_pk_mul_f32 v[70:71], v[102:103], s[40:41]
	s_mov_b32 s31, s12
	v_mov_b32_e32 v45, v155
	v_mov_b32_e32 v155, v101
	v_pk_add_f32 v[150:151], v[152:153], v[150:151]
	v_pk_fma_f32 v[194:195], v[2:3], s[14:15], v[70:71] neg_lo:[1,0,0] neg_hi:[1,0,0]
	v_pk_fma_f32 v[158:159], v[2:3], s[14:15], v[70:71]
	s_mov_b32 s13, s30
	v_pk_mul_f32 v[174:175], v[88:89], s[30:31]
	s_mov_b32 s45, s34
	v_pk_add_f32 v[150:151], v[154:155], v[150:151]
	v_mov_b32_e32 v195, v159
	v_pk_fma_f32 v[196:197], v[4:5], s[12:13], v[174:175] neg_lo:[1,0,0] neg_hi:[1,0,0]
	v_pk_fma_f32 v[168:169], v[4:5], s[12:13], v[174:175]
	s_mov_b32 s35, s44
	v_pk_mul_f32 v[182:183], v[84:85], s[44:45]
	ds_write2_b64 v19, v[118:119], v[150:151] offset0:68 offset1:102
	v_pk_mul_f32 v[118:119], v[52:53], s[20:21] op_sel:[1,0] op_sel_hi:[0,0]
	v_mov_b32_e32 v197, v169
	v_pk_fma_f32 v[198:199], v[86:87], s[34:35], v[182:183] neg_lo:[1,0,0] neg_hi:[1,0,0]
	v_pk_fma_f32 v[172:173], v[58:59], s[34:35], v[182:183]
	v_pk_mul_f32 v[176:177], v[106:107], s[48:49] op_sel:[1,0] op_sel_hi:[0,0]
	v_pk_add_f32 v[194:195], v[194:195], v[0:1]
	v_pk_fma_f32 v[156:157], v[50:51], s[26:27], v[118:119] op_sel_hi:[1,0,1] neg_lo:[0,0,1] neg_hi:[0,0,1]
	v_pk_fma_f32 v[150:151], v[50:51], s[26:27], v[118:119] op_sel_hi:[1,0,1]
	v_mov_b32_e32 v199, v173
	v_pk_fma_f32 v[186:187], v[104:105], s[52:53], v[176:177] op_sel_hi:[1,0,1] neg_lo:[0,0,1] neg_hi:[0,0,1]
	v_pk_fma_f32 v[176:177], v[104:105], s[52:53], v[176:177] op_sel_hi:[1,0,1]
	v_pk_mul_f32 v[184:185], v[112:113], s[16:17] op_sel:[1,0] op_sel_hi:[0,0]
	v_pk_add_f32 v[194:195], v[196:197], v[194:195]
	s_mov_b32 s25, s44
	v_pk_mul_f32 v[206:207], v[102:103], s[62:63]
	s_mov_b32 s27, s42
	v_mov_b32_e32 v200, v186
	v_mov_b32_e32 v201, v177
	v_pk_fma_f32 v[188:189], v[108:109], s[36:37], v[184:185] op_sel_hi:[1,0,1] neg_lo:[0,0,1] neg_hi:[0,0,1]
	v_pk_fma_f32 v[184:185], v[108:109], s[36:37], v[184:185] op_sel_hi:[1,0,1]
	v_pk_add_f32 v[194:195], v[198:199], v[194:195]
	v_pk_fma_f32 v[228:229], v[2:3], s[24:25], v[206:207] neg_lo:[1,0,0] neg_hi:[1,0,0]
	v_pk_fma_f32 v[198:199], v[2:3], s[24:25], v[206:207]
	s_mov_b32 s43, s26
	v_pk_mul_f32 v[210:211], v[88:89], s[26:27]
	s_mov_b32 s62, s23
	s_mov_b32 s63, s50
	v_pk_mul_f32 v[152:153], v[60:61], s[60:61] op_sel:[1,0] op_sel_hi:[0,0]
	v_pk_mul_f32 v[154:155], v[72:73], s[50:51] op_sel:[1,0] op_sel_hi:[0,0]
	v_mov_b32_e32 v202, v188
	v_mov_b32_e32 v203, v185
	v_pk_add_f32 v[194:195], v[200:201], v[194:195]
	v_mov_b32_e32 v229, v199
	v_pk_fma_f32 v[230:231], v[4:5], s[42:43], v[210:211] neg_lo:[1,0,0] neg_hi:[1,0,0]
	v_pk_fma_f32 v[204:205], v[4:5], s[42:43], v[210:211]
	s_mov_b32 s51, s23
	v_pk_mul_f32 v[214:215], v[84:85], s[62:63]
	v_mov_b32_e32 v118, v156
	v_mov_b32_e32 v119, v151
	v_pk_fma_f32 v[164:165], v[54:55], s[18:19], v[152:153] op_sel_hi:[1,0,1] neg_lo:[0,0,1] neg_hi:[0,0,1]
	v_pk_fma_f32 v[152:153], v[54:55], s[18:19], v[152:153] op_sel_hi:[1,0,1]
	v_pk_add_f32 v[194:195], v[202:203], v[194:195]
	v_mov_b32_e32 v231, v205
	v_pk_fma_f32 v[232:233], v[86:87], s[50:51], v[214:215] neg_lo:[1,0,0] neg_hi:[1,0,0]
	v_pk_fma_f32 v[208:209], v[58:59], s[50:51], v[214:215]
	v_pk_mul_f32 v[212:213], v[106:107], s[16:17] op_sel:[1,0] op_sel_hi:[0,0]
	v_pk_add_f32 v[228:229], v[228:229], v[0:1]
	v_mov_b32_e32 v190, v164
	v_mov_b32_e32 v191, v153
	v_pk_fma_f32 v[166:167], v[66:67], s[56:57], v[154:155] op_sel_hi:[1,0,1] neg_lo:[0,0,1] neg_hi:[0,0,1]
	v_pk_fma_f32 v[154:155], v[66:67], s[56:57], v[154:155] op_sel_hi:[1,0,1]
	v_pk_add_f32 v[118:119], v[118:119], v[194:195]
	v_mov_b32_e32 v233, v209
	v_pk_fma_f32 v[218:219], v[104:105], s[36:37], v[212:213] op_sel_hi:[1,0,1] neg_lo:[0,0,1] neg_hi:[0,0,1]
	v_pk_fma_f32 v[212:213], v[104:105], s[36:37], v[212:213] op_sel_hi:[1,0,1]
	v_pk_mul_f32 v[216:217], v[112:113], s[12:13] op_sel:[1,0] op_sel_hi:[0,0]
	v_pk_add_f32 v[228:229], v[230:231], v[228:229]
	v_mov_b32_e32 v192, v166
	v_mov_b32_e32 v193, v155
	v_pk_add_f32 v[118:119], v[190:191], v[118:119]
	v_pk_mul_f32 v[190:191], v[52:53], s[58:59] op_sel:[1,0] op_sel_hi:[0,0]
	v_mov_b32_e32 v234, v218
	v_mov_b32_e32 v235, v213
	v_pk_fma_f32 v[220:221], v[108:109], s[30:31], v[216:217] op_sel_hi:[1,0,1] neg_lo:[0,0,1] neg_hi:[0,0,1]
	v_pk_fma_f32 v[216:217], v[108:109], s[30:31], v[216:217] op_sel_hi:[1,0,1]
	v_pk_add_f32 v[228:229], v[232:233], v[228:229]
	v_pk_add_f32 v[118:119], v[192:193], v[118:119]
	v_pk_fma_f32 v[196:197], v[50:51], s[40:41], v[190:191] op_sel_hi:[1,0,1] neg_lo:[0,0,1] neg_hi:[0,0,1]
	v_pk_fma_f32 v[190:191], v[50:51], s[40:41], v[190:191] op_sel_hi:[1,0,1]
	v_pk_mul_f32 v[192:193], v[60:61], s[28:29] op_sel:[1,0] op_sel_hi:[0,0]
	v_mov_b32_e32 v236, v220
	v_mov_b32_e32 v237, v217
	v_pk_add_f32 v[228:229], v[234:235], v[228:229]
	v_mov_b32_e32 v222, v196
	v_mov_b32_e32 v223, v191
	v_pk_fma_f32 v[200:201], v[54:55], s[52:53], v[192:193] op_sel_hi:[1,0,1] neg_lo:[0,0,1] neg_hi:[0,0,1]
	v_pk_fma_f32 v[192:193], v[54:55], s[52:53], v[192:193] op_sel_hi:[1,0,1]
	v_pk_mul_f32 v[194:195], v[72:73], s[10:11] op_sel:[1,0] op_sel_hi:[0,0]
	v_pk_add_f32 v[228:229], v[236:237], v[228:229]
	v_mov_b32_e32 v224, v200
	v_mov_b32_e32 v225, v193
	v_pk_fma_f32 v[202:203], v[66:67], s[18:19], v[194:195] op_sel_hi:[1,0,1] neg_lo:[0,0,1] neg_hi:[0,0,1]
	v_pk_fma_f32 v[194:195], v[66:67], s[18:19], v[194:195] op_sel_hi:[1,0,1]
	v_pk_add_f32 v[222:223], v[222:223], v[228:229]
	v_mov_b32_e32 v226, v202
	v_mov_b32_e32 v227, v195
	v_pk_add_f32 v[222:223], v[224:225], v[222:223]
	v_pk_mul_f32 v[236:237], v[102:103], s[18:19]
	v_pk_add_f32 v[222:223], v[226:227], v[222:223]
	v_pk_fma_f32 v[246:247], v[2:3], s[10:11], v[236:237] neg_lo:[1,0,0] neg_hi:[1,0,0]
	v_pk_fma_f32 v[226:227], v[2:3], s[10:11], v[236:237]
	v_pk_mul_f32 v[240:241], v[88:89], s[44:45]
	v_mov_b32_e32 v247, v227
	v_pk_fma_f32 v[248:249], v[4:5], s[34:35], v[240:241] neg_lo:[1,0,0] neg_hi:[1,0,0]
	v_pk_fma_f32 v[230:231], v[4:5], s[34:35], v[240:241]
	v_pk_mul_f32 v[242:243], v[84:85], s[54:55]
	v_mov_b32_e32 v249, v231
	v_pk_fma_f32 v[250:251], v[86:87], s[28:29], v[242:243] neg_lo:[1,0,0] neg_hi:[1,0,0]
	v_pk_fma_f32 v[234:235], v[58:59], s[28:29], v[242:243]
	v_pk_mul_f32 v[238:239], v[106:107], s[20:21] op_sel:[1,0] op_sel_hi:[0,0]
	v_pk_add_f32 v[246:247], v[246:247], v[0:1]
	v_mov_b32_e32 v80, v32
	v_mov_b32_e32 v251, v235
	v_pk_fma_f32 v[56:57], v[104:105], s[26:27], v[238:239] op_sel_hi:[1,0,1] neg_lo:[0,0,1] neg_hi:[0,0,1]
	v_pk_fma_f32 v[244:245], v[104:105], s[26:27], v[238:239] op_sel_hi:[1,0,1]
	v_pk_add_f32 v[246:247], v[248:249], v[246:247]
	v_pk_mul_f32 v[32:33], v[112:113], s[58:59] op_sel:[1,0] op_sel_hi:[0,0]
	ds_write2_b64 v19, v[118:119], v[222:223] offset0:136 offset1:170
	v_pk_mul_f32 v[118:119], v[52:53], s[22:23] op_sel:[1,0] op_sel_hi:[0,0]
	v_mov_b32_e32 v238, v56
	v_mov_b32_e32 v239, v245
	v_pk_add_f32 v[250:251], v[250:251], v[246:247]
	v_pk_fma_f32 v[248:249], v[108:109], s[40:41], v[32:33] op_sel_hi:[1,0,1] neg_lo:[0,0,1] neg_hi:[0,0,1]
	v_pk_fma_f32 v[246:247], v[108:109], s[40:41], v[32:33] op_sel_hi:[1,0,1]
	v_pk_fma_f32 v[228:229], v[50:51], s[56:57], v[118:119] op_sel_hi:[1,0,1] neg_lo:[0,0,1] neg_hi:[0,0,1]
	v_pk_fma_f32 v[222:223], v[50:51], s[56:57], v[118:119] op_sel_hi:[1,0,1]
	v_pk_mul_f32 v[224:225], v[60:61], s[12:13] op_sel:[1,0] op_sel_hi:[0,0]
	v_pk_add_f32 v[32:33], v[238:239], v[250:251]
	v_mov_b32_e32 v238, v248
	v_mov_b32_e32 v239, v247
	;; [unrolled: 1-line block ×4, first 2 shown]
	v_pk_fma_f32 v[68:69], v[54:55], s[30:31], v[224:225] op_sel_hi:[1,0,1] neg_lo:[0,0,1] neg_hi:[0,0,1]
	v_pk_fma_f32 v[232:233], v[54:55], s[30:31], v[224:225] op_sel_hi:[1,0,1]
	v_pk_add_f32 v[32:33], v[238:239], v[32:33]
	v_pk_mul_f32 v[238:239], v[72:73], s[46:47] op_sel:[1,0] op_sel_hi:[0,0]
	v_mov_b32_e32 v224, v68
	v_mov_b32_e32 v225, v233
	v_pk_add_f32 v[32:33], v[118:119], v[32:33]
	v_pk_fma_f32 v[118:119], v[66:67], s[36:37], v[238:239] op_sel_hi:[1,0,1] neg_lo:[0,0,1] neg_hi:[0,0,1]
	v_pk_fma_f32 v[250:251], v[66:67], s[36:37], v[238:239] op_sel_hi:[1,0,1]
	v_pk_add_f32 v[32:33], v[224:225], v[32:33]
	v_mov_b32_e32 v224, v118
	v_mov_b32_e32 v225, v251
	s_mov_b32 s27, s20
	v_pk_add_f32 v[32:33], v[224:225], v[32:33]
	s_mov_b32 s21, s26
	v_pk_mul_f32 v[224:225], v[102:103], s[26:27]
	s_mov_b32 s37, s46
	v_pk_fma_f32 v[238:239], v[2:3], s[20:21], v[224:225] neg_lo:[1,0,0] neg_hi:[1,0,0]
	v_pk_fma_f32 v[22:23], v[2:3], s[20:21], v[224:225]
	s_mov_b32 s47, s36
	v_pk_mul_f32 v[252:253], v[88:89], s[36:37]
	v_mov_b32_e32 v239, v23
	v_pk_fma_f32 v[28:29], v[4:5], s[46:47], v[252:253] neg_lo:[1,0,0] neg_hi:[1,0,0]
	v_pk_fma_f32 v[38:39], v[4:5], s[46:47], v[252:253]
	v_pk_add_f32 v[238:239], v[238:239], v[0:1]
	v_mov_b32_e32 v29, v39
	v_pk_add_f32 v[28:29], v[28:29], v[238:239]
	v_pk_mul_f32 v[238:239], v[84:85], s[40:41]
	v_mov_b32_e32 v90, v34
	v_pk_fma_f32 v[254:255], v[86:87], s[14:15], v[238:239] neg_lo:[1,0,0] neg_hi:[1,0,0]
	v_pk_fma_f32 v[140:141], v[58:59], s[14:15], v[238:239]
	v_mov_b32_e32 v76, v30
	v_mov_b32_e32 v255, v141
	v_pk_add_f32 v[28:29], v[254:255], v[28:29]
	v_pk_mul_f32 v[254:255], v[106:107], s[60:61] op_sel:[1,0] op_sel_hi:[0,0]
	v_pk_fma_f32 v[36:37], v[104:105], s[18:19], v[254:255] op_sel_hi:[1,0,1] neg_lo:[0,0,1] neg_hi:[0,0,1]
	v_pk_fma_f32 v[254:255], v[104:105], s[18:19], v[254:255] op_sel_hi:[1,0,1]
	v_mov_b32_e32 v6, v36
	v_mov_b32_e32 v7, v255
	v_pk_add_f32 v[6:7], v[6:7], v[28:29]
	v_pk_mul_f32 v[28:29], v[112:113], s[28:29] op_sel:[1,0] op_sel_hi:[0,0]
	v_pk_fma_f32 v[34:35], v[108:109], s[52:53], v[28:29] op_sel_hi:[1,0,1] neg_lo:[0,0,1] neg_hi:[0,0,1]
	v_pk_fma_f32 v[28:29], v[108:109], s[52:53], v[28:29] op_sel_hi:[1,0,1]
	;; [unrolled: 6-line block ×5, first 2 shown]
	v_mov_b32_e32 v14, v24
	v_mov_b32_e32 v15, v13
	v_pk_add_f32 v[6:7], v[14:15], v[6:7]
	ds_write2_b64 v19, v[32:33], v[6:7] offset0:204 offset1:238
	v_pk_fma_f32 v[6:7], v[2:3], s[28:29], v[162:163] neg_lo:[0,0,1] neg_hi:[0,0,1]
	v_mov_b32_e32 v138, v136
	v_mov_b32_e32 v161, v7
	v_pk_fma_f32 v[6:7], v[4:5], s[22:23], v[180:181] neg_lo:[0,0,1] neg_hi:[0,0,1]
	v_mov_b32_e32 v142, v144
	v_mov_b32_e32 v179, v7
	v_pk_add_f32 v[6:7], v[160:161], v[0:1]
	v_mov_b32_e32 v146, v148
	v_pk_add_f32 v[6:7], v[178:179], v[6:7]
	v_pk_mul_f32 v[32:33], v[60:61], s[24:25] op_sel:[1,0] op_sel_hi:[0,0]
	v_pk_add_f32 v[6:7], v[138:139], v[6:7]
	v_pk_mul_f32 v[60:61], v[102:103], s[30:31]
	v_pk_add_f32 v[6:7], v[142:143], v[6:7]
	v_pk_fma_f32 v[102:103], v[2:3], s[12:13], v[60:61] neg_lo:[1,0,0] neg_hi:[1,0,0]
	v_pk_add_f32 v[6:7], v[146:147], v[6:7]
	s_mov_b32 s49, s29
	v_pk_add_f32 v[6:7], v[76:77], v[6:7]
	v_pk_mul_f32 v[84:85], v[84:85], s[26:27]
	v_pk_add_f32 v[6:7], v[80:81], v[6:7]
	v_pk_mul_f32 v[80:81], v[112:113], s[10:11] op_sel:[1,0] op_sel_hi:[0,0]
	v_pk_add_f32 v[76:77], v[90:91], v[6:7]
	v_pk_mul_f32 v[6:7], v[52:53], s[46:47] op_sel:[1,0] op_sel_hi:[0,0]
	v_pk_mul_f32 v[52:53], v[72:73], s[58:59] op_sel:[1,0] op_sel_hi:[0,0]
	v_pk_fma_f32 v[14:15], v[50:51], s[36:37], v[6:7] op_sel_hi:[1,0,1] neg_lo:[0,0,1] neg_hi:[0,0,1]
	v_pk_fma_f32 v[6:7], v[50:51], s[36:37], v[6:7] op_sel_hi:[1,0,1]
	v_pk_fma_f32 v[50:51], v[54:55], s[44:45], v[32:33] op_sel_hi:[1,0,1] neg_lo:[0,0,1] neg_hi:[0,0,1]
	v_pk_fma_f32 v[32:33], v[54:55], s[44:45], v[32:33] op_sel_hi:[1,0,1]
	;; [unrolled: 2-line block ×3, first 2 shown]
	v_pk_mul_f32 v[66:67], v[106:107], s[50:51] op_sel:[1,0] op_sel_hi:[0,0]
	v_pk_fma_f32 v[90:91], v[108:109], s[18:19], v[80:81] op_sel_hi:[1,0,1] neg_lo:[0,0,1] neg_hi:[0,0,1]
	v_pk_fma_f32 v[80:81], v[108:109], s[18:19], v[80:81] op_sel_hi:[1,0,1]
	s_mov_b32 s18, s29
	s_mov_b32 s19, s48
	v_pk_fma_f32 v[72:73], v[104:105], s[56:57], v[66:67] op_sel_hi:[1,0,1] neg_lo:[0,0,1] neg_hi:[0,0,1]
	v_pk_fma_f32 v[66:67], v[104:105], s[56:57], v[66:67] op_sel_hi:[1,0,1]
	v_pk_fma_f32 v[104:105], v[2:3], s[12:13], v[60:61]
	v_pk_mul_f32 v[88:89], v[88:89], s[18:19]
	v_mov_b32_e32 v103, v105
	v_pk_fma_f32 v[106:107], v[4:5], s[48:49], v[88:89] neg_lo:[1,0,0] neg_hi:[1,0,0]
	v_pk_fma_f32 v[108:109], v[4:5], s[48:49], v[88:89]
	v_pk_add_f32 v[102:103], v[102:103], v[0:1]
	v_mov_b32_e32 v107, v109
	v_pk_add_f32 v[102:103], v[106:107], v[102:103]
	v_pk_fma_f32 v[86:87], v[86:87], s[20:21], v[84:85] neg_lo:[1,0,0] neg_hi:[1,0,0]
	v_pk_fma_f32 v[106:107], v[58:59], s[20:21], v[84:85]
	v_mov_b32_e32 v255, v37
	v_mov_b32_e32 v87, v107
	v_pk_add_f32 v[86:87], v[86:87], v[102:103]
	v_mov_b32_e32 v102, v72
	v_mov_b32_e32 v103, v67
	v_pk_add_f32 v[86:87], v[102:103], v[86:87]
	;; [unrolled: 3-line block ×3, first 2 shown]
	v_mov_b32_e32 v102, v14
	v_mov_b32_e32 v103, v7
	;; [unrolled: 1-line block ×3, first 2 shown]
	v_pk_fma_f32 v[14:15], v[2:3], s[12:13], v[60:61] neg_lo:[0,0,1] neg_hi:[0,0,1]
	v_mov_b32_e32 v67, v73
	v_mov_b32_e32 v105, v15
	v_pk_fma_f32 v[14:15], v[4:5], s[48:49], v[88:89] neg_lo:[0,0,1] neg_hi:[0,0,1]
	v_mov_b32_e32 v81, v91
	v_mov_b32_e32 v109, v15
	v_pk_fma_f32 v[14:15], v[58:59], s[20:21], v[84:85] neg_lo:[0,0,1] neg_hi:[0,0,1]
	v_pk_add_f32 v[86:87], v[102:103], v[86:87]
	v_mov_b32_e32 v107, v15
	v_pk_add_f32 v[14:15], v[104:105], v[0:1]
	v_mov_b32_e32 v102, v50
	;; [unrolled: 2-line block ×4, first 2 shown]
	v_pk_add_f32 v[14:15], v[66:67], v[14:15]
	v_pk_add_f32 v[86:87], v[102:103], v[86:87]
	;; [unrolled: 1-line block ×3, first 2 shown]
	v_mov_b32_e32 v102, v54
	v_pk_add_f32 v[6:7], v[6:7], v[14:15]
	v_mov_b32_e32 v103, v53
	v_mov_b32_e32 v53, v55
	v_pk_add_f32 v[6:7], v[32:33], v[6:7]
	v_pk_add_f32 v[86:87], v[102:103], v[86:87]
	;; [unrolled: 1-line block ×3, first 2 shown]
	v_add_u32_e32 v14, 0x800, v19
	ds_write2_b64 v14, v[86:87], v[6:7] offset0:16 offset1:50
	v_pk_fma_f32 v[6:7], v[2:3], s[20:21], v[224:225] neg_lo:[0,0,1] neg_hi:[0,0,1]
	v_mov_b32_e32 v29, v35
	v_mov_b32_e32 v23, v7
	v_pk_fma_f32 v[6:7], v[4:5], s[46:47], v[252:253] neg_lo:[0,0,1] neg_hi:[0,0,1]
	v_mov_b32_e32 v9, v31
	v_mov_b32_e32 v39, v7
	;; [unrolled: 3-line block ×3, first 2 shown]
	v_pk_add_f32 v[6:7], v[22:23], v[0:1]
	v_mov_b32_e32 v247, v249
	v_pk_add_f32 v[6:7], v[38:39], v[6:7]
	v_mov_b32_e32 v223, v229
	;; [unrolled: 2-line block ×5, first 2 shown]
	v_pk_add_f32 v[6:7], v[8:9], v[6:7]
	v_pk_fma_f32 v[8:9], v[2:3], s[10:11], v[236:237] neg_lo:[0,0,1] neg_hi:[0,0,1]
	v_pk_add_f32 v[6:7], v[10:11], v[6:7]
	v_mov_b32_e32 v227, v9
	v_pk_fma_f32 v[8:9], v[4:5], s[34:35], v[240:241] neg_lo:[0,0,1] neg_hi:[0,0,1]
	v_mov_b32_e32 v251, v119
	v_mov_b32_e32 v231, v9
	v_pk_fma_f32 v[8:9], v[58:59], s[28:29], v[242:243] neg_lo:[0,0,1] neg_hi:[0,0,1]
	v_pk_add_f32 v[6:7], v[12:13], v[6:7]
	v_mov_b32_e32 v235, v9
	v_pk_add_f32 v[8:9], v[226:227], v[0:1]
	v_mov_b32_e32 v213, v219
	;; [unrolled: 2-line block ×8, first 2 shown]
	v_pk_add_f32 v[8:9], v[250:251], v[8:9]
	ds_write2_b64 v14, v[6:7], v[8:9] offset0:84 offset1:118
	v_pk_fma_f32 v[6:7], v[2:3], s[24:25], v[206:207] neg_lo:[0,0,1] neg_hi:[0,0,1]
	v_pk_fma_f32 v[8:9], v[2:3], s[14:15], v[70:71] neg_lo:[0,0,1] neg_hi:[0,0,1]
	v_mov_b32_e32 v199, v7
	v_pk_fma_f32 v[6:7], v[4:5], s[42:43], v[210:211] neg_lo:[0,0,1] neg_hi:[0,0,1]
	v_mov_b32_e32 v159, v9
	;; [unrolled: 2-line block ×5, first 2 shown]
	v_pk_add_f32 v[6:7], v[198:199], v[0:1]
	v_mov_b32_e32 v173, v9
	v_pk_add_f32 v[8:9], v[158:159], v[0:1]
	v_pk_add_f32 v[6:7], v[204:205], v[6:7]
	;; [unrolled: 1-line block ×10, first 2 shown]
	v_mov_b32_e32 v153, v165
	v_pk_add_f32 v[8:9], v[150:151], v[8:9]
	v_mov_b32_e32 v195, v203
	v_pk_add_f32 v[6:7], v[192:193], v[6:7]
	;; [unrolled: 2-line block ×3, first 2 shown]
	v_pk_add_f32 v[6:7], v[194:195], v[6:7]
	v_pk_add_f32 v[8:9], v[154:155], v[8:9]
	ds_write2_b64 v14, v[6:7], v[8:9] offset0:152 offset1:186
	v_pk_fma_f32 v[6:7], v[2:3], s[16:17], v[122:123] neg_lo:[0,0,1] neg_hi:[0,0,1]
	v_pk_fma_f32 v[2:3], v[2:3], s[22:23], v[94:95] neg_lo:[0,0,1] neg_hi:[0,0,1]
	v_mov_b32_e32 v115, v7
	v_pk_fma_f32 v[6:7], v[4:5], s[10:11], v[124:125] neg_lo:[0,0,1] neg_hi:[0,0,1]
	v_mov_b32_e32 v97, v41
	v_mov_b32_e32 v121, v7
	v_pk_fma_f32 v[6:7], v[58:59], s[38:39], v[130:131] neg_lo:[0,0,1] neg_hi:[0,0,1]
	v_mov_b32_e32 v41, v3
	v_pk_fma_f32 v[2:3], v[4:5], s[14:15], v[92:93] neg_lo:[0,0,1] neg_hi:[0,0,1]
	v_mov_b32_e32 v127, v7
	v_pk_add_f32 v[6:7], v[114:115], v[0:1]
	v_mov_b32_e32 v47, v3
	v_pk_fma_f32 v[2:3], v[58:59], s[10:11], v[78:79] neg_lo:[0,0,1] neg_hi:[0,0,1]
	v_pk_add_f32 v[0:1], v[40:41], v[0:1]
	v_pk_add_f32 v[6:7], v[120:121], v[6:7]
	v_mov_b32_e32 v63, v3
	v_pk_add_f32 v[0:1], v[46:47], v[0:1]
	v_mov_b32_e32 v129, v117
	v_pk_add_f32 v[6:7], v[126:127], v[6:7]
	v_accvgpr_read_b32 v65, a23
	v_pk_add_f32 v[0:1], v[62:63], v[0:1]
	v_mov_b32_e32 v135, v111
	v_pk_add_f32 v[6:7], v[128:129], v[6:7]
	v_accvgpr_read_b32 v75, a25
	v_pk_add_f32 v[0:1], v[64:65], v[0:1]
	v_pk_add_f32 v[6:7], v[134:135], v[6:7]
	v_mov_b32_e32 v49, v145
	v_pk_add_f32 v[0:1], v[74:75], v[0:1]
	v_mov_b32_e32 v99, v43
	v_mov_b32_e32 v101, v45
	v_pk_add_f32 v[6:7], v[96:97], v[6:7]
	v_mov_b32_e32 v45, v149
	v_pk_add_f32 v[0:1], v[48:49], v[0:1]
	v_pk_add_f32 v[6:7], v[98:99], v[6:7]
	v_accvgpr_read_b32 v43, a21
	v_pk_add_f32 v[0:1], v[44:45], v[0:1]
	v_pk_add_f32 v[6:7], v[100:101], v[6:7]
	;; [unrolled: 1-line block ×3, first 2 shown]
	ds_write2_b64 v14, v[6:7], v[0:1] offset0:220 offset1:254
	ds_write_b64 v19, v[76:77] offset:4352
	v_accvgpr_read_b32 v0, a19
	v_accvgpr_read_b32 v90, a11
	;; [unrolled: 1-line block ×9, first 2 shown]
	s_waitcnt lgkmcnt(0)
	s_barrier
	ds_read2_b64 v[4:7], v0 offset0:66 offset1:134
	ds_read2_b64 v[8:11], v171 offset0:74 offset1:142
	ds_read_b64 v[44:45], v80
	ds_read_b64 v[46:47], v86
	;; [unrolled: 1-line block ×4, first 2 shown]
	ds_read2_b64 v[12:15], v133 offset0:82 offset1:150
	ds_read2_b64 v[0:3], v83 offset0:90 offset1:158
	ds_read_b64 v[52:53], v84
	ds_read_b64 v[54:55], v90
	;; [unrolled: 1-line block ×4, first 2 shown]
	s_movk_i32 s12, 0x1000
	s_and_saveexec_b64 s[10:11], s[2:3]
	s_cbranch_execz .LBB0_18
; %bb.17:
	v_accvgpr_read_b32 v19, a18
	ds_read_b64 v[76:77], v19
	ds_read_b64 a[16:17], v137 offset:8976
	v_accvgpr_read_b32 v132, a0
.LBB0_18:
	s_or_b64 exec, exec, s[10:11]
	v_mov_b32_e32 v19, 0
	v_mov_b32_e32 v83, v19
	v_lshl_add_u64 v[32:33], v[82:83], 3, s[8:9]
	v_accvgpr_read_b32 v30, a4
	v_mov_b32_e32 v31, v19
	v_add_co_u32_e32 v32, vcc, s12, v32
	v_mov_b64_e32 v[70:71], v[30:31]
	v_lshl_add_u64 v[30:31], v[30:31], 3, s[8:9]
	v_addc_co_u32_e32 v33, vcc, 0, v33, vcc
	v_mov_b32_e32 v171, v19
	v_add_co_u32_e32 v30, vcc, s12, v30
	v_lshl_add_u64 v[28:29], v[170:171], 3, s[8:9]
	s_nop 0
	v_addc_co_u32_e32 v31, vcc, 0, v31, vcc
	v_accvgpr_read_b32 v26, a6
	v_mov_b32_e32 v27, v19
	v_add_co_u32_e32 v28, vcc, s12, v28
	v_mov_b64_e32 v[72:73], v[26:27]
	v_lshl_add_u64 v[26:27], v[26:27], 3, s[8:9]
	v_addc_co_u32_e32 v29, vcc, 0, v29, vcc
	v_accvgpr_read_b32 v24, a8
	v_mov_b32_e32 v25, v19
	v_add_co_u32_e32 v26, vcc, s12, v26
	v_mov_b64_e32 v[74:75], v[24:25]
	v_lshl_add_u64 v[24:25], v[24:25], 3, s[8:9]
	;; [unrolled: 6-line block ×3, first 2 shown]
	v_addc_co_u32_e32 v25, vcc, 0, v25, vcc
	v_add_co_u32_e32 v22, vcc, s12, v22
	global_load_dwordx2 v[34:35], v[32:33], off offset:392
	global_load_dwordx2 v[36:37], v[30:31], off offset:392
	;; [unrolled: 1-line block ×3, first 2 shown]
	v_addc_co_u32_e32 v23, vcc, 0, v23, vcc
	global_load_dwordx2 v[28:29], v[26:27], off offset:392
	global_load_dwordx2 v[30:31], v[24:25], off offset:392
	;; [unrolled: 1-line block ×3, first 2 shown]
	v_lshl_add_u64 v[22:23], v[18:19], 3, s[8:9]
	v_add_co_u32_e32 v22, vcc, s12, v22
	v_accvgpr_read_b32 v24, a2
	s_nop 0
	v_addc_co_u32_e32 v23, vcc, 0, v23, vcc
	global_load_dwordx2 v[22:23], v[22:23], off offset:392
	v_mov_b32_e32 v25, v19
	v_mov_b64_e32 v[68:69], v[24:25]
	v_lshl_add_u64 v[24:25], v[24:25], 3, s[8:9]
	v_add_co_u32_e32 v24, vcc, s12, v24
	s_waitcnt vmcnt(6) lgkmcnt(4)
	v_pk_mul_f32 v[26:27], v[34:35], v[0:1] op_sel:[0,1]
	v_addc_co_u32_e32 v25, vcc, 0, v25, vcc
	global_load_dwordx2 v[24:25], v[24:25], off offset:392
	s_waitcnt vmcnt(5)
	v_pk_mul_f32 v[58:59], v[38:39], v[12:13] op_sel:[0,1]
	v_pk_mul_f32 v[40:41], v[36:37], v[14:15] op_sel:[0,1]
	v_pk_fma_f32 v[66:67], v[34:35], v[0:1], v[26:27] op_sel:[0,0,1] op_sel_hi:[1,1,0] neg_lo:[0,0,1] neg_hi:[0,0,1]
	v_pk_fma_f32 v[0:1], v[34:35], v[0:1], v[26:27] op_sel:[0,0,1] op_sel_hi:[1,0,0]
	v_pk_fma_f32 v[34:35], v[38:39], v[12:13], v[58:59] op_sel:[0,0,1] op_sel_hi:[1,1,0] neg_lo:[0,0,1] neg_hi:[0,0,1]
	v_pk_fma_f32 v[12:13], v[38:39], v[12:13], v[58:59] op_sel:[0,0,1] op_sel_hi:[1,0,0]
	s_waitcnt vmcnt(4)
	v_pk_mul_f32 v[60:61], v[28:29], v[10:11] op_sel:[0,1]
	s_waitcnt vmcnt(3)
	v_pk_mul_f32 v[62:63], v[30:31], v[8:9] op_sel:[0,1]
	;; [unrolled: 2-line block ×3, first 2 shown]
	v_pk_mul_f32 v[64:65], v[32:33], v[6:7] op_sel:[0,1]
	v_pk_fma_f32 v[26:27], v[36:37], v[14:15], v[40:41] op_sel:[0,0,1] op_sel_hi:[1,1,0] neg_lo:[0,0,1] neg_hi:[0,0,1]
	v_pk_fma_f32 v[14:15], v[36:37], v[14:15], v[40:41] op_sel:[0,0,1] op_sel_hi:[1,0,0]
	v_pk_fma_f32 v[40:41], v[22:23], v[4:5], v[38:39] op_sel:[0,0,1] op_sel_hi:[1,1,0] neg_lo:[0,0,1] neg_hi:[0,0,1]
	v_pk_fma_f32 v[4:5], v[22:23], v[4:5], v[38:39] op_sel:[0,0,1] op_sel_hi:[1,0,0]
	;; [unrolled: 2-line block ×5, first 2 shown]
	v_mov_b32_e32 v41, v5
	v_mov_b32_e32 v67, v1
	;; [unrolled: 1-line block ×7, first 2 shown]
	v_pk_add_f32 v[4:5], v[44:45], v[40:41] neg_lo:[0,1] neg_hi:[0,1]
	s_waitcnt lgkmcnt(1)
	v_pk_add_f32 v[0:1], v[56:57], v[66:67] neg_lo:[0,1] neg_hi:[0,1]
	v_pk_add_f32 v[8:9], v[54:55], v[26:27] neg_lo:[0,1] neg_hi:[0,1]
	v_pk_add_f32 v[10:11], v[52:53], v[34:35] neg_lo:[0,1] neg_hi:[0,1]
	v_pk_add_f32 v[12:13], v[50:51], v[36:37] neg_lo:[0,1] neg_hi:[0,1]
	v_pk_add_f32 v[14:15], v[48:49], v[28:29] neg_lo:[0,1] neg_hi:[0,1]
	v_pk_add_f32 v[6:7], v[46:47], v[30:31] neg_lo:[0,1] neg_hi:[0,1]
	v_pk_fma_f32 v[22:23], v[44:45], 2.0, v[4:5] op_sel_hi:[1,0,1] neg_lo:[0,0,1] neg_hi:[0,0,1]
	v_pk_fma_f32 v[26:27], v[56:57], 2.0, v[0:1] op_sel_hi:[1,0,1] neg_lo:[0,0,1] neg_hi:[0,0,1]
	;; [unrolled: 1-line block ×7, first 2 shown]
	s_waitcnt lgkmcnt(0)
	s_barrier
	ds_write_b64 v137, v[22:23]
	ds_write_b64 v137, v[4:5] offset:4624
	ds_write_b64 v86, v[30:31]
	ds_write_b64 v86, v[6:7] offset:4624
	;; [unrolled: 2-line block ×7, first 2 shown]
	s_waitcnt vmcnt(0)
	v_pk_mul_f32 v[0:1], v[2:3], v[24:25] op_sel:[0,1]
	s_nop 0
	v_pk_fma_f32 v[4:5], v[2:3], v[24:25], v[0:1] op_sel:[0,0,1] op_sel_hi:[1,1,0] neg_lo:[0,0,1] neg_hi:[0,0,1]
	v_pk_fma_f32 v[0:1], v[2:3], v[24:25], v[0:1] op_sel:[0,0,1] op_sel_hi:[1,0,0]
	s_nop 0
	v_mov_b32_e32 v5, v1
	v_pk_add_f32 v[0:1], v[42:43], v[4:5] neg_lo:[0,1] neg_hi:[0,1]
	s_nop 0
	v_pk_fma_f32 v[2:3], v[42:43], 2.0, v[0:1] op_sel_hi:[1,0,1] neg_lo:[0,0,1] neg_hi:[0,0,1]
	ds_write_b64 v88, v[2:3]
	ds_write_b64 v88, v[0:1] offset:4624
	s_and_saveexec_b64 s[10:11], s[2:3]
	s_cbranch_execz .LBB0_20
; %bb.19:
	v_mov_b32_e32 v133, v19
	v_lshl_add_u64 v[0:1], v[132:133], 3, s[8:9]
	v_add_co_u32_e32 v0, vcc, 0x1000, v0
	v_accvgpr_read_b32 v6, a16
	s_nop 0
	v_addc_co_u32_e32 v1, vcc, 0, v1, vcc
	global_load_dwordx2 v[0:1], v[0:1], off offset:392
	v_accvgpr_read_b32 v7, a17
	s_waitcnt vmcnt(0)
	v_pk_mul_f32 v[2:3], v[6:7], v[0:1] op_sel:[1,0]
	s_nop 0
	v_pk_fma_f32 v[4:5], v[6:7], v[0:1], v[2:3] op_sel:[0,0,1] op_sel_hi:[1,1,0] neg_lo:[0,0,1] neg_hi:[0,0,1]
	v_pk_fma_f32 v[0:1], v[6:7], v[0:1], v[2:3] op_sel:[0,0,1] op_sel_hi:[0,1,0]
	v_mov_b32_e32 v5, v1
	v_pk_add_f32 v[0:1], v[76:77], v[4:5] neg_lo:[0,1] neg_hi:[0,1]
	s_nop 0
	v_pk_fma_f32 v[2:3], v[76:77], 2.0, v[0:1] op_sel_hi:[1,0,1] neg_lo:[0,0,1] neg_hi:[0,0,1]
	ds_write_b64 v137, v[2:3] offset:4352
	ds_write_b64 v137, v[0:1] offset:8976
.LBB0_20:
	s_or_b64 exec, exec, s[10:11]
	s_waitcnt lgkmcnt(0)
	s_barrier
	ds_read_b64 v[4:5], v80
	s_add_u32 s8, s8, 0x2398
	v_accvgpr_read_b32 v0, a1
	v_accvgpr_read_b32 v1, a5
	s_addc_u32 s9, s9, 0
	v_sub_u32_e32 v6, v0, v1
	v_cmp_ne_u32_e32 vcc, 0, v18
                                        ; implicit-def: $vgpr2_vgpr3
                                        ; implicit-def: $vgpr1
	s_and_saveexec_b64 s[10:11], vcc
	s_xor_b64 s[10:11], exec, s[10:11]
	s_cbranch_execz .LBB0_22
; %bb.21:
	v_lshl_add_u64 v[0:1], v[18:19], 3, s[8:9]
	global_load_dwordx2 v[2:3], v[0:1], off
	ds_read_b64 v[0:1], v6 offset:9248
	v_mov_b32_e32 v9, 0.5
	v_mov_b32_e32 v10, v9
	s_waitcnt lgkmcnt(0)
	v_pk_add_f32 v[12:13], v[0:1], v[4:5]
	v_pk_add_f32 v[0:1], v[4:5], v[0:1] neg_lo:[0,1] neg_hi:[0,1]
	v_mov_b32_e32 v4, v13
	v_mov_b32_e32 v5, v0
	v_pk_mul_f32 v[4:5], v[4:5], 0.5 op_sel_hi:[1,0]
	s_waitcnt vmcnt(0)
	v_mov_b32_e32 v8, v3
	v_mov_b32_e32 v0, v5
	;; [unrolled: 1-line block ×4, first 2 shown]
	v_pk_mul_f32 v[0:1], v[8:9], v[0:1]
	v_pk_mul_f32 v[14:15], v[2:3], v[4:5] op_sel_hi:[0,1]
	v_pk_fma_f32 v[8:9], v[12:13], v[10:11], v[0:1]
	v_pk_fma_f32 v[10:11], v[12:13], v[10:11], v[0:1] neg_lo:[0,0,1] neg_hi:[0,0,1]
	v_add_f32_e32 v0, v14, v8
	v_sub_f32_e32 v1, v9, v15
	ds_write_b32 v80, v0
	v_pk_fma_f32 v[2:3], v[2:3], v[4:5], v[10:11] op_sel_hi:[0,1,1] neg_lo:[1,0,0] neg_hi:[1,0,0]
                                        ; implicit-def: $vgpr4_vgpr5
.LBB0_22:
	s_andn2_saveexec_b64 s[10:11], s[10:11]
	s_cbranch_execz .LBB0_24
; %bb.23:
	v_accvgpr_read_b32 v3, a1
	ds_read_b32 v2, v3 offset:4628
	s_waitcnt lgkmcnt(1)
	v_mov_b32_e32 v0, v5
	v_add_f32_e32 v1, v5, v4
	ds_write_b32 v80, v1
	v_pk_add_f32 v[0:1], v[4:5], v[0:1] neg_lo:[0,1] neg_hi:[0,1]
	s_waitcnt lgkmcnt(1)
	v_xor_b32_e32 v1, 0x80000000, v2
	ds_write_b32 v3, v1 offset:4628
	v_mov_b32_e32 v1, 0
	v_mov_b64_e32 v[2:3], v[0:1]
.LBB0_24:
	s_or_b64 exec, exec, s[10:11]
	s_waitcnt lgkmcnt(0)
	v_lshl_add_u64 v[4:5], v[78:79], 3, s[8:9]
	global_load_dwordx2 v[4:5], v[4:5], off
	v_lshl_add_u64 v[8:9], v[74:75], 3, s[8:9]
	global_load_dwordx2 v[8:9], v[8:9], off
	v_lshl_add_u64 v[10:11], v[72:73], 3, s[8:9]
	global_load_dwordx2 v[10:11], v[10:11], off
	v_lshl_add_u64 v[12:13], v[170:171], 3, s[8:9]
	global_load_dwordx2 v[12:13], v[12:13], off
	ds_write_b32 v80, v1 offset:4
	ds_write_b64 v6, v[2:3] offset:9248
	v_lshl_add_u64 v[2:3], v[70:71], 3, s[8:9]
	ds_read_b64 v[14:15], v86
	ds_read_b64 v[22:23], v6 offset:8704
	global_load_dwordx2 v[2:3], v[2:3], off
	v_mov_b32_e32 v1, 0.5
	v_mov_b32_e32 v28, v1
	v_lshl_add_u64 v[24:25], v[82:83], 3, s[8:9]
	s_waitcnt lgkmcnt(0)
	v_pk_add_f32 v[30:31], v[14:15], v[22:23]
	v_pk_add_f32 v[14:15], v[14:15], v[22:23] neg_lo:[0,1] neg_hi:[0,1]
	v_mov_b32_e32 v22, v31
	v_mov_b32_e32 v23, v14
	v_pk_mul_f32 v[22:23], v[22:23], 0.5 op_sel_hi:[1,0]
	v_lshl_add_u64 v[26:27], v[68:69], 3, s[8:9]
	v_mov_b32_e32 v14, v23
	v_mov_b32_e32 v31, v22
	s_waitcnt vmcnt(4)
	v_mov_b32_e32 v0, v5
	v_mov_b32_e32 v29, v5
	v_pk_mul_f32 v[14:15], v[0:1], v[14:15]
	s_waitcnt vmcnt(3)
	v_mov_b32_e32 v0, v9
	v_pk_fma_f32 v[32:33], v[30:31], v[28:29], v[14:15]
	v_pk_fma_f32 v[14:15], v[30:31], v[28:29], v[14:15] neg_lo:[0,0,1] neg_hi:[0,0,1]
	v_pk_fma_f32 v[28:29], v[4:5], v[22:23], v[32:33]
	v_pk_fma_f32 v[30:31], v[4:5], v[22:23], v[32:33] op_sel_hi:[0,1,1] neg_lo:[1,0,0] neg_hi:[1,0,0]
	v_mov_b32_e32 v29, v31
	v_pk_fma_f32 v[4:5], v[4:5], v[22:23], v[14:15] op_sel_hi:[0,1,1] neg_lo:[1,0,0] neg_hi:[1,0,0]
	ds_write_b64 v86, v[28:29]
	ds_write_b64 v6, v[4:5] offset:8704
	ds_read_b64 v[4:5], v85
	ds_read_b64 v[14:15], v6 offset:8160
	global_load_dwordx2 v[24:25], v[24:25], off
	v_mov_b32_e32 v22, v1
	v_mov_b32_e32 v23, v9
	s_waitcnt lgkmcnt(0)
	v_pk_add_f32 v[28:29], v[4:5], v[14:15]
	v_pk_add_f32 v[4:5], v[4:5], v[14:15] neg_lo:[0,1] neg_hi:[0,1]
	v_mov_b32_e32 v14, v29
	v_mov_b32_e32 v15, v4
	v_pk_mul_f32 v[14:15], v[14:15], 0.5 op_sel_hi:[1,0]
	s_nop 0
	v_mov_b32_e32 v4, v15
	v_mov_b32_e32 v29, v14
	v_pk_mul_f32 v[4:5], v[0:1], v[4:5]
	s_waitcnt vmcnt(3)
	v_mov_b32_e32 v0, v11
	v_pk_fma_f32 v[30:31], v[28:29], v[22:23], v[4:5]
	v_pk_fma_f32 v[4:5], v[28:29], v[22:23], v[4:5] neg_lo:[0,0,1] neg_hi:[0,0,1]
	v_pk_fma_f32 v[22:23], v[8:9], v[14:15], v[30:31]
	v_pk_fma_f32 v[28:29], v[8:9], v[14:15], v[30:31] op_sel_hi:[0,1,1] neg_lo:[1,0,0] neg_hi:[1,0,0]
	v_mov_b32_e32 v23, v29
	v_pk_fma_f32 v[4:5], v[8:9], v[14:15], v[4:5] op_sel_hi:[0,1,1] neg_lo:[1,0,0] neg_hi:[1,0,0]
	ds_write_b64 v85, v[22:23]
	ds_write_b64 v6, v[4:5] offset:8160
	ds_read_b64 v[4:5], v81
	ds_read_b64 v[8:9], v6 offset:7616
	global_load_dwordx2 v[22:23], v[26:27], off
	v_mov_b32_e32 v14, v1
	v_mov_b32_e32 v15, v11
	s_waitcnt lgkmcnt(0)
	v_pk_add_f32 v[26:27], v[4:5], v[8:9]
	v_pk_add_f32 v[4:5], v[4:5], v[8:9] neg_lo:[0,1] neg_hi:[0,1]
	v_mov_b32_e32 v8, v27
	v_mov_b32_e32 v9, v4
	v_pk_mul_f32 v[8:9], v[8:9], 0.5 op_sel_hi:[1,0]
	s_nop 0
	v_mov_b32_e32 v4, v9
	v_mov_b32_e32 v27, v8
	v_pk_mul_f32 v[4:5], v[0:1], v[4:5]
	s_waitcnt vmcnt(3)
	v_mov_b32_e32 v0, v13
	v_pk_fma_f32 v[28:29], v[26:27], v[14:15], v[4:5]
	v_pk_fma_f32 v[4:5], v[26:27], v[14:15], v[4:5] neg_lo:[0,0,1] neg_hi:[0,0,1]
	v_pk_fma_f32 v[14:15], v[10:11], v[8:9], v[28:29]
	v_pk_fma_f32 v[26:27], v[10:11], v[8:9], v[28:29] op_sel_hi:[0,1,1] neg_lo:[1,0,0] neg_hi:[1,0,0]
	v_mov_b32_e32 v15, v27
	v_pk_fma_f32 v[4:5], v[10:11], v[8:9], v[4:5] op_sel_hi:[0,1,1] neg_lo:[1,0,0] neg_hi:[1,0,0]
	ds_write_b64 v81, v[14:15]
	ds_write_b64 v6, v[4:5] offset:7616
	ds_read_b64 v[4:5], v84
	ds_read_b64 v[8:9], v6 offset:7072
	v_mov_b32_e32 v10, v1
	v_mov_b32_e32 v11, v13
	s_waitcnt lgkmcnt(0)
	v_pk_add_f32 v[14:15], v[4:5], v[8:9]
	v_pk_add_f32 v[4:5], v[4:5], v[8:9] neg_lo:[0,1] neg_hi:[0,1]
	v_mov_b32_e32 v8, v15
	v_mov_b32_e32 v9, v4
	v_pk_mul_f32 v[8:9], v[8:9], 0.5 op_sel_hi:[1,0]
	s_nop 0
	v_mov_b32_e32 v4, v9
	v_mov_b32_e32 v15, v8
	v_pk_mul_f32 v[4:5], v[0:1], v[4:5]
	s_waitcnt vmcnt(2)
	v_mov_b32_e32 v0, v3
	v_pk_fma_f32 v[26:27], v[14:15], v[10:11], v[4:5]
	v_pk_fma_f32 v[4:5], v[14:15], v[10:11], v[4:5] neg_lo:[0,0,1] neg_hi:[0,0,1]
	v_pk_fma_f32 v[10:11], v[12:13], v[8:9], v[26:27]
	v_pk_fma_f32 v[14:15], v[12:13], v[8:9], v[26:27] op_sel_hi:[0,1,1] neg_lo:[1,0,0] neg_hi:[1,0,0]
	v_mov_b32_e32 v11, v15
	v_pk_fma_f32 v[4:5], v[12:13], v[8:9], v[4:5] op_sel_hi:[0,1,1] neg_lo:[1,0,0] neg_hi:[1,0,0]
	ds_write_b64 v84, v[10:11]
	ds_write_b64 v6, v[4:5] offset:7072
	ds_read_b64 v[4:5], v90
	ds_read_b64 v[8:9], v6 offset:6528
	;; [unrolled: 24-line block ×4, first 2 shown]
	v_mov_b32_e32 v8, v1
	v_mov_b32_e32 v9, v23
	s_waitcnt lgkmcnt(0)
	v_pk_add_f32 v[10:11], v[2:3], v[4:5]
	v_pk_add_f32 v[2:3], v[2:3], v[4:5] neg_lo:[0,1] neg_hi:[0,1]
	v_mov_b32_e32 v4, v11
	v_mov_b32_e32 v5, v2
	v_pk_mul_f32 v[4:5], v[4:5], 0.5 op_sel_hi:[1,0]
	s_nop 0
	v_mov_b32_e32 v2, v5
	v_mov_b32_e32 v11, v4
	v_pk_mul_f32 v[2:3], v[0:1], v[2:3]
	s_nop 0
	v_pk_fma_f32 v[12:13], v[10:11], v[8:9], v[2:3]
	v_pk_fma_f32 v[2:3], v[10:11], v[8:9], v[2:3] neg_lo:[0,0,1] neg_hi:[0,0,1]
	v_pk_fma_f32 v[8:9], v[22:23], v[4:5], v[12:13]
	v_pk_fma_f32 v[10:11], v[22:23], v[4:5], v[12:13] op_sel_hi:[0,1,1] neg_lo:[1,0,0] neg_hi:[1,0,0]
	v_mov_b32_e32 v9, v11
	v_pk_fma_f32 v[2:3], v[22:23], v[4:5], v[2:3] op_sel_hi:[0,1,1] neg_lo:[1,0,0] neg_hi:[1,0,0]
	ds_write_b64 v88, v[8:9]
	ds_write_b64 v6, v[2:3] offset:5440
	s_and_saveexec_b64 s[10:11], s[2:3]
	s_cbranch_execz .LBB0_26
; %bb.25:
	v_accvgpr_read_b32 v4, a0
	v_mov_b32_e32 v5, 0
	v_lshl_add_u64 v[2:3], v[4:5], 3, s[8:9]
	global_load_dwordx2 v[2:3], v[2:3], off
	v_accvgpr_read_b32 v0, a1
	v_lshl_add_u32 v7, v4, 3, v0
	ds_read_b64 v[4:5], v7
	ds_read_b64 v[8:9], v6 offset:4896
	v_mov_b32_e32 v10, v1
	s_waitcnt lgkmcnt(0)
	v_pk_add_f32 v[12:13], v[4:5], v[8:9]
	v_pk_add_f32 v[4:5], v[4:5], v[8:9] neg_lo:[0,1] neg_hi:[0,1]
	v_mov_b32_e32 v8, v13
	v_mov_b32_e32 v9, v4
	v_pk_mul_f32 v[8:9], v[8:9], 0.5 op_sel_hi:[1,0]
	s_waitcnt vmcnt(0)
	v_mov_b32_e32 v0, v3
	v_mov_b32_e32 v4, v9
	;; [unrolled: 1-line block ×4, first 2 shown]
	v_pk_mul_f32 v[0:1], v[0:1], v[4:5]
	s_nop 0
	v_pk_fma_f32 v[4:5], v[12:13], v[10:11], v[0:1]
	v_pk_fma_f32 v[0:1], v[12:13], v[10:11], v[0:1] neg_lo:[0,0,1] neg_hi:[0,0,1]
	v_pk_fma_f32 v[10:11], v[2:3], v[8:9], v[4:5]
	v_pk_fma_f32 v[4:5], v[2:3], v[8:9], v[4:5] op_sel_hi:[0,1,1] neg_lo:[1,0,0] neg_hi:[1,0,0]
	v_mov_b32_e32 v11, v5
	v_pk_fma_f32 v[0:1], v[2:3], v[8:9], v[0:1] op_sel_hi:[0,1,1] neg_lo:[1,0,0] neg_hi:[1,0,0]
	ds_write_b64 v7, v[10:11]
	ds_write_b64 v6, v[0:1] offset:4896
.LBB0_26:
	s_or_b64 exec, exec, s[10:11]
	s_waitcnt lgkmcnt(0)
	s_barrier
	s_and_saveexec_b64 s[2:3], s[0:1]
	s_cbranch_execz .LBB0_29
; %bb.27:
	v_mul_lo_u32 v2, s5, v20
	v_mul_lo_u32 v3, s4, v21
	v_mad_u64_u32 v[0:1], s[0:1], s4, v20, 0
	v_add3_u32 v1, v1, v3, v2
	v_accvgpr_read_b32 v2, a1
	v_lshl_add_u32 v2, v18, 3, v2
	ds_read2_b64 v[4:7], v2 offset1:68
	v_lshl_add_u64 v[0:1], v[0:1], 3, s[6:7]
	v_mov_b32_e32 v19, 0
	v_lshl_add_u64 v[0:1], v[16:17], 3, v[0:1]
	v_lshl_add_u64 v[8:9], v[18:19], 3, v[0:1]
	s_waitcnt lgkmcnt(0)
	global_store_dwordx2 v[8:9], v[4:5], off
	ds_read2_b64 v[8:11], v2 offset0:136 offset1:204
	v_add_u32_e32 v4, 0x44, v18
	v_mov_b32_e32 v5, v19
	v_lshl_add_u64 v[4:5], v[4:5], 3, v[0:1]
	global_store_dwordx2 v[4:5], v[6:7], off
	v_add_u32_e32 v4, 0x88, v18
	v_mov_b32_e32 v5, v19
	v_lshl_add_u64 v[4:5], v[4:5], 3, v[0:1]
	s_waitcnt lgkmcnt(0)
	global_store_dwordx2 v[4:5], v[8:9], off
	v_add_u32_e32 v4, 0xcc, v18
	v_mov_b32_e32 v5, v19
	v_add_u32_e32 v3, 0x800, v2
	v_lshl_add_u64 v[8:9], v[4:5], 3, v[0:1]
	ds_read2_b64 v[4:7], v3 offset0:16 offset1:84
	global_store_dwordx2 v[8:9], v[10:11], off
	v_add_u32_e32 v8, 0x110, v18
	v_mov_b32_e32 v9, v19
	v_lshl_add_u64 v[8:9], v[8:9], 3, v[0:1]
	s_waitcnt lgkmcnt(0)
	global_store_dwordx2 v[8:9], v[4:5], off
	ds_read2_b64 v[8:11], v3 offset0:152 offset1:220
	v_add_u32_e32 v4, 0x154, v18
	v_mov_b32_e32 v5, v19
	v_lshl_add_u64 v[4:5], v[4:5], 3, v[0:1]
	global_store_dwordx2 v[4:5], v[6:7], off
	v_add_u32_e32 v4, 0x198, v18
	v_mov_b32_e32 v5, v19
	v_lshl_add_u64 v[4:5], v[4:5], 3, v[0:1]
	s_waitcnt lgkmcnt(0)
	global_store_dwordx2 v[4:5], v[8:9], off
	v_add_u32_e32 v4, 0x1dc, v18
	v_mov_b32_e32 v5, v19
	v_add_u32_e32 v3, 0x1000, v2
	v_lshl_add_u64 v[8:9], v[4:5], 3, v[0:1]
	ds_read2_b64 v[4:7], v3 offset0:32 offset1:100
	global_store_dwordx2 v[8:9], v[10:11], off
	v_add_u32_e32 v8, 0x220, v18
	v_mov_b32_e32 v9, v19
	;; [unrolled: 21-line block ×3, first 2 shown]
	v_lshl_add_u64 v[8:9], v[8:9], 3, v[0:1]
	s_waitcnt lgkmcnt(0)
	global_store_dwordx2 v[8:9], v[4:5], off
	ds_read2_b64 v[8:11], v3 offset0:184 offset1:252
	v_add_u32_e32 v4, 0x374, v18
	v_mov_b32_e32 v5, v19
	v_lshl_add_u64 v[4:5], v[4:5], 3, v[0:1]
	global_store_dwordx2 v[4:5], v[6:7], off
	v_add_u32_e32 v4, 0x3b8, v18
	v_mov_b32_e32 v5, v19
	v_lshl_add_u64 v[4:5], v[4:5], 3, v[0:1]
	ds_read_b64 v[6:7], v2 offset:8704
	s_waitcnt lgkmcnt(1)
	global_store_dwordx2 v[4:5], v[8:9], off
	v_add_u32_e32 v4, 0x3fc, v18
	v_mov_b32_e32 v5, v19
	v_lshl_add_u64 v[4:5], v[4:5], 3, v[0:1]
	global_store_dwordx2 v[4:5], v[10:11], off
	v_add_u32_e32 v4, 0x440, v18
	v_mov_b32_e32 v5, v19
	s_movk_i32 s0, 0x43
	v_lshl_add_u64 v[4:5], v[4:5], 3, v[0:1]
	v_cmp_eq_u32_e32 vcc, s0, v18
	s_waitcnt lgkmcnt(0)
	global_store_dwordx2 v[4:5], v[6:7], off
	s_and_b64 exec, exec, vcc
	s_cbranch_execz .LBB0_29
; %bb.28:
	ds_read_b64 v[2:3], v2 offset:8712
	v_add_co_u32_e32 v0, vcc, 0x2000, v0
	s_nop 1
	v_addc_co_u32_e32 v1, vcc, 0, v1, vcc
	s_waitcnt lgkmcnt(0)
	global_store_dwordx2 v[0:1], v[2:3], off offset:1056
.LBB0_29:
	s_endpgm
	.section	.rodata,"a",@progbits
	.p2align	6, 0x0
	.amdhsa_kernel fft_rtc_fwd_len1156_factors_17_2_17_2_wgs_204_tpt_68_halfLds_sp_op_CI_CI_unitstride_sbrr_R2C_dirReg
		.amdhsa_group_segment_fixed_size 0
		.amdhsa_private_segment_fixed_size 0
		.amdhsa_kernarg_size 104
		.amdhsa_user_sgpr_count 2
		.amdhsa_user_sgpr_dispatch_ptr 0
		.amdhsa_user_sgpr_queue_ptr 0
		.amdhsa_user_sgpr_kernarg_segment_ptr 1
		.amdhsa_user_sgpr_dispatch_id 0
		.amdhsa_user_sgpr_kernarg_preload_length 0
		.amdhsa_user_sgpr_kernarg_preload_offset 0
		.amdhsa_user_sgpr_private_segment_size 0
		.amdhsa_uses_dynamic_stack 0
		.amdhsa_enable_private_segment 0
		.amdhsa_system_sgpr_workgroup_id_x 1
		.amdhsa_system_sgpr_workgroup_id_y 0
		.amdhsa_system_sgpr_workgroup_id_z 0
		.amdhsa_system_sgpr_workgroup_info 0
		.amdhsa_system_vgpr_workitem_id 0
		.amdhsa_next_free_vgpr 282
		.amdhsa_next_free_sgpr 64
		.amdhsa_accum_offset 256
		.amdhsa_reserve_vcc 1
		.amdhsa_float_round_mode_32 0
		.amdhsa_float_round_mode_16_64 0
		.amdhsa_float_denorm_mode_32 3
		.amdhsa_float_denorm_mode_16_64 3
		.amdhsa_dx10_clamp 1
		.amdhsa_ieee_mode 1
		.amdhsa_fp16_overflow 0
		.amdhsa_tg_split 0
		.amdhsa_exception_fp_ieee_invalid_op 0
		.amdhsa_exception_fp_denorm_src 0
		.amdhsa_exception_fp_ieee_div_zero 0
		.amdhsa_exception_fp_ieee_overflow 0
		.amdhsa_exception_fp_ieee_underflow 0
		.amdhsa_exception_fp_ieee_inexact 0
		.amdhsa_exception_int_div_zero 0
	.end_amdhsa_kernel
	.text
.Lfunc_end0:
	.size	fft_rtc_fwd_len1156_factors_17_2_17_2_wgs_204_tpt_68_halfLds_sp_op_CI_CI_unitstride_sbrr_R2C_dirReg, .Lfunc_end0-fft_rtc_fwd_len1156_factors_17_2_17_2_wgs_204_tpt_68_halfLds_sp_op_CI_CI_unitstride_sbrr_R2C_dirReg
                                        ; -- End function
	.section	.AMDGPU.csdata,"",@progbits
; Kernel info:
; codeLenInByte = 16320
; NumSgprs: 70
; NumVgprs: 256
; NumAgprs: 26
; TotalNumVgprs: 282
; ScratchSize: 0
; MemoryBound: 0
; FloatMode: 240
; IeeeMode: 1
; LDSByteSize: 0 bytes/workgroup (compile time only)
; SGPRBlocks: 8
; VGPRBlocks: 35
; NumSGPRsForWavesPerEU: 70
; NumVGPRsForWavesPerEU: 282
; AccumOffset: 256
; Occupancy: 1
; WaveLimiterHint : 1
; COMPUTE_PGM_RSRC2:SCRATCH_EN: 0
; COMPUTE_PGM_RSRC2:USER_SGPR: 2
; COMPUTE_PGM_RSRC2:TRAP_HANDLER: 0
; COMPUTE_PGM_RSRC2:TGID_X_EN: 1
; COMPUTE_PGM_RSRC2:TGID_Y_EN: 0
; COMPUTE_PGM_RSRC2:TGID_Z_EN: 0
; COMPUTE_PGM_RSRC2:TIDIG_COMP_CNT: 0
; COMPUTE_PGM_RSRC3_GFX90A:ACCUM_OFFSET: 63
; COMPUTE_PGM_RSRC3_GFX90A:TG_SPLIT: 0
	.text
	.p2alignl 6, 3212836864
	.fill 256, 4, 3212836864
	.type	__hip_cuid_8e97a2c9b87dcb9b,@object ; @__hip_cuid_8e97a2c9b87dcb9b
	.section	.bss,"aw",@nobits
	.globl	__hip_cuid_8e97a2c9b87dcb9b
__hip_cuid_8e97a2c9b87dcb9b:
	.byte	0                               ; 0x0
	.size	__hip_cuid_8e97a2c9b87dcb9b, 1

	.ident	"AMD clang version 19.0.0git (https://github.com/RadeonOpenCompute/llvm-project roc-6.4.0 25133 c7fe45cf4b819c5991fe208aaa96edf142730f1d)"
	.section	".note.GNU-stack","",@progbits
	.addrsig
	.addrsig_sym __hip_cuid_8e97a2c9b87dcb9b
	.amdgpu_metadata
---
amdhsa.kernels:
  - .agpr_count:     26
    .args:
      - .actual_access:  read_only
        .address_space:  global
        .offset:         0
        .size:           8
        .value_kind:     global_buffer
      - .offset:         8
        .size:           8
        .value_kind:     by_value
      - .actual_access:  read_only
        .address_space:  global
        .offset:         16
        .size:           8
        .value_kind:     global_buffer
      - .actual_access:  read_only
        .address_space:  global
        .offset:         24
        .size:           8
        .value_kind:     global_buffer
      - .actual_access:  read_only
        .address_space:  global
        .offset:         32
        .size:           8
        .value_kind:     global_buffer
      - .offset:         40
        .size:           8
        .value_kind:     by_value
      - .actual_access:  read_only
        .address_space:  global
        .offset:         48
        .size:           8
        .value_kind:     global_buffer
      - .actual_access:  read_only
        .address_space:  global
        .offset:         56
        .size:           8
        .value_kind:     global_buffer
      - .offset:         64
        .size:           4
        .value_kind:     by_value
      - .actual_access:  read_only
        .address_space:  global
        .offset:         72
        .size:           8
        .value_kind:     global_buffer
      - .actual_access:  read_only
        .address_space:  global
        .offset:         80
        .size:           8
        .value_kind:     global_buffer
      - .actual_access:  read_only
        .address_space:  global
        .offset:         88
        .size:           8
        .value_kind:     global_buffer
      - .actual_access:  write_only
        .address_space:  global
        .offset:         96
        .size:           8
        .value_kind:     global_buffer
    .group_segment_fixed_size: 0
    .kernarg_segment_align: 8
    .kernarg_segment_size: 104
    .language:       OpenCL C
    .language_version:
      - 2
      - 0
    .max_flat_workgroup_size: 204
    .name:           fft_rtc_fwd_len1156_factors_17_2_17_2_wgs_204_tpt_68_halfLds_sp_op_CI_CI_unitstride_sbrr_R2C_dirReg
    .private_segment_fixed_size: 0
    .sgpr_count:     70
    .sgpr_spill_count: 0
    .symbol:         fft_rtc_fwd_len1156_factors_17_2_17_2_wgs_204_tpt_68_halfLds_sp_op_CI_CI_unitstride_sbrr_R2C_dirReg.kd
    .uniform_work_group_size: 1
    .uses_dynamic_stack: false
    .vgpr_count:     282
    .vgpr_spill_count: 0
    .wavefront_size: 64
amdhsa.target:   amdgcn-amd-amdhsa--gfx950
amdhsa.version:
  - 1
  - 2
...

	.end_amdgpu_metadata
